;; amdgpu-corpus repo=ROCm/rocFFT kind=compiled arch=gfx1030 opt=O3
	.text
	.amdgcn_target "amdgcn-amd-amdhsa--gfx1030"
	.amdhsa_code_object_version 6
	.protected	bluestein_single_back_len2040_dim1_dp_op_CI_CI ; -- Begin function bluestein_single_back_len2040_dim1_dp_op_CI_CI
	.globl	bluestein_single_back_len2040_dim1_dp_op_CI_CI
	.p2align	8
	.type	bluestein_single_back_len2040_dim1_dp_op_CI_CI,@function
bluestein_single_back_len2040_dim1_dp_op_CI_CI: ; @bluestein_single_back_len2040_dim1_dp_op_CI_CI
; %bb.0:
	v_mul_u32_u24_e32 v1, 0x182, v0
	s_mov_b64 s[62:63], s[2:3]
	s_mov_b64 s[60:61], s[0:1]
	s_load_dwordx4 s[0:3], s[4:5], 0x28
	s_add_u32 s60, s60, s7
	v_lshrrev_b32_e32 v1, 16, v1
	s_addc_u32 s61, s61, 0
	v_mov_b32_e32 v4, 0
	v_add_nc_u32_e32 v3, s6, v1
	v_mov_b32_e32 v2, v3
	buffer_store_dword v2, off, s[60:63], 0 offset:4 ; 4-byte Folded Spill
	buffer_store_dword v3, off, s[60:63], 0 offset:8 ; 4-byte Folded Spill
	s_waitcnt lgkmcnt(0)
	v_cmp_gt_u64_e32 vcc_lo, s[0:1], v[3:4]
	s_and_saveexec_b32 s0, vcc_lo
	s_cbranch_execz .LBB0_23
; %bb.1:
	v_mul_lo_u16 v1, 0xaa, v1
	s_clause 0x1
	s_load_dwordx2 s[12:13], s[4:5], 0x0
	s_load_dwordx2 s[14:15], s[4:5], 0x38
	v_sub_nc_u16 v0, v0, v1
	v_and_b32_e32 v1, 0xffff, v0
	v_cmp_gt_u16_e32 vcc_lo, 0x78, v0
	v_lshlrev_b32_e32 v255, 4, v1
	v_or_b32_e32 v0, 0x780, v1
	buffer_store_dword v1, off, s[60:63], 0 ; 4-byte Folded Spill
	buffer_store_dword v0, off, s[60:63], 0 offset:372 ; 4-byte Folded Spill
	s_and_saveexec_b32 s1, vcc_lo
	s_cbranch_execz .LBB0_3
; %bb.2:
	s_load_dwordx2 s[6:7], s[4:5], 0x18
	s_waitcnt lgkmcnt(0)
	global_load_dwordx4 v[0:3], v255, s[12:13] offset:1920
	v_add_co_u32 v4, s0, s12, v255
	v_add_co_ci_u32_e64 v5, null, s13, 0, s0
	v_add_co_u32 v6, s0, 0x800, v4
	v_add_co_ci_u32_e64 v7, s0, 0, v5, s0
	v_add_co_u32 v10, s0, 0x1000, v4
	v_add_co_ci_u32_e64 v11, s0, 0, v5, s0
	;; [unrolled: 2-line block ×3, first 2 shown]
	v_add_co_u32 v18, s0, 0x2000, v4
	s_load_dwordx4 s[8:11], s[6:7], 0x0
	s_clause 0x2
	buffer_load_dword v8, off, s[60:63], 0 offset:4
	buffer_load_dword v9, off, s[60:63], 0 offset:8
	buffer_load_dword v42, off, s[60:63], 0
	v_add_co_ci_u32_e64 v19, s0, 0, v5, s0
	v_add_co_u32 v22, s0, 0x2800, v4
	v_add_co_ci_u32_e64 v23, s0, 0, v5, s0
	v_add_co_u32 v26, s0, 0x3000, v4
	;; [unrolled: 2-line block ×5, first 2 shown]
	v_add_co_ci_u32_e64 v95, s0, 0, v5, s0
	s_waitcnt lgkmcnt(0)
	s_mul_i32 s7, s9, 0x780
	s_mul_i32 s6, s8, 0x780
	s_waitcnt vmcnt(2)
	v_mov_b32_e32 v13, v8
	s_waitcnt vmcnt(0)
	v_mad_u64_u32 v[36:37], null, s8, v42, 0
	v_or_b32_e32 v80, 0x780, v42
	global_load_dwordx4 v[6:9], v[6:7], off offset:1792
	v_mad_u64_u32 v[34:35], null, s10, v13, 0
	s_mul_hi_u32 s10, s8, 0x780
	v_lshlrev_b32_e32 v90, 4, v80
	v_mov_b32_e32 v20, v37
	s_add_i32 s10, s10, s7
	v_mov_b32_e32 v12, v35
	v_mad_u64_u32 v[40:41], null, s9, v42, v[20:21]
	v_mad_u64_u32 v[32:33], null, s11, v13, v[12:13]
	s_clause 0x4
	global_load_dwordx4 v[10:13], v[10:11], off offset:1664
	global_load_dwordx4 v[14:17], v[14:15], off offset:1536
	;; [unrolled: 1-line block ×5, first 2 shown]
	v_mov_b32_e32 v37, v40
	v_mad_u64_u32 v[40:41], null, s8, v80, 0
	v_mov_b32_e32 v35, v32
	v_lshlrev_b64 v[36:37], 4, v[36:37]
	global_load_dwordx4 v[30:33], v[30:31], off offset:1024
	v_lshlrev_b64 v[34:35], 4, v[34:35]
	v_add_co_u32 v78, s0, s2, v34
	v_add_co_ci_u32_e64 v79, s0, s3, v35, s0
	v_mov_b32_e32 v34, v41
	v_add_co_u32 v42, s0, v78, v36
	v_add_co_ci_u32_e64 v43, s0, v79, v37, s0
	v_mad_u64_u32 v[46:47], null, s9, v80, v[34:35]
	global_load_dwordx4 v[34:37], v[38:39], off offset:896
	v_add_co_u32 v44, s0, v42, s6
	v_add_co_ci_u32_e64 v45, s0, s10, v43, s0
	v_add_co_u32 v47, s0, v44, s6
	v_add_co_ci_u32_e64 v48, s0, s10, v45, s0
	v_mov_b32_e32 v41, v46
	v_add_co_u32 v50, s0, v47, s6
	v_add_co_ci_u32_e64 v51, s0, s10, v48, s0
	v_lshlrev_b64 v[74:75], 4, v[40:41]
	v_add_co_u32 v54, s0, v50, s6
	v_add_co_ci_u32_e64 v55, s0, s10, v51, s0
	s_clause 0x1
	global_load_dwordx4 v[38:41], v[42:43], off
	global_load_dwordx4 v[42:45], v[44:45], off
	v_add_co_u32 v58, s0, v54, s6
	v_add_co_ci_u32_e64 v59, s0, s10, v55, s0
	s_clause 0x1
	global_load_dwordx4 v[46:49], v[47:48], off
	global_load_dwordx4 v[50:53], v[50:51], off
	v_add_co_u32 v62, s0, v58, s6
	v_add_co_ci_u32_e64 v63, s0, s10, v59, s0
	global_load_dwordx4 v[54:57], v[54:55], off
	v_add_co_u32 v66, s0, v62, s6
	v_add_co_ci_u32_e64 v67, s0, s10, v63, s0
	;; [unrolled: 3-line block ×3, first 2 shown]
	v_add_co_u32 v76, s0, v70, s6
	v_add_co_ci_u32_e64 v77, s0, s10, v71, s0
	global_load_dwordx4 v[62:65], v[62:63], off
	global_load_dwordx4 v[66:69], v[66:67], off
	;; [unrolled: 1-line block ×3, first 2 shown]
	v_add_co_u32 v96, s0, v76, s6
	v_add_co_ci_u32_e64 v97, s0, s10, v77, s0
	v_add_co_u32 v86, s0, v78, v74
	v_add_co_ci_u32_e64 v87, s0, v79, v75, s0
	global_load_dwordx4 v[74:77], v[76:77], off
	global_load_dwordx4 v[78:81], v[96:97], off
	global_load_dwordx4 v[82:85], v255, s[12:13]
	global_load_dwordx4 v[86:89], v[86:87], off
	global_load_dwordx4 v[90:93], v90, s[12:13]
	v_add_co_u32 v98, s0, v96, s6
	v_add_co_ci_u32_e64 v99, s0, s10, v97, s0
	v_add_co_u32 v102, s0, 0x5000, v4
	v_add_co_ci_u32_e64 v103, s0, 0, v5, s0
	;; [unrolled: 2-line block ×8, first 2 shown]
	v_add_co_u32 v4, s0, 0x7000, v4
	global_load_dwordx4 v[94:97], v[94:95], off offset:768
	v_add_co_ci_u32_e64 v5, s0, 0, v5, s0
	v_add_co_u32 v134, s0, v122, s6
	global_load_dwordx4 v[98:101], v[98:99], off
	global_load_dwordx4 v[102:105], v[102:103], off offset:640
	global_load_dwordx4 v[106:109], v[106:107], off
	global_load_dwordx4 v[110:113], v[110:111], off offset:512
	global_load_dwordx4 v[114:117], v[118:119], off
	v_add_co_ci_u32_e64 v135, s0, s10, v123, s0
	global_load_dwordx4 v[118:121], v[120:121], off offset:384
	global_load_dwordx4 v[122:125], v[122:123], off
	s_clause 0x1
	global_load_dwordx4 v[126:129], v[126:127], off offset:256
	global_load_dwordx4 v[130:133], v[4:5], off offset:128
	global_load_dwordx4 v[134:137], v[134:135], off
	s_waitcnt vmcnt(23)
	v_mul_f64 v[140:141], v[44:45], v[2:3]
	v_mul_f64 v[142:143], v[42:43], v[2:3]
	s_waitcnt vmcnt(22)
	v_mul_f64 v[144:145], v[48:49], v[8:9]
	v_mul_f64 v[146:147], v[46:47], v[8:9]
	;; [unrolled: 3-line block ×6, first 2 shown]
	v_fma_f64 v[2:3], v[38:39], v[82:83], v[4:5]
	v_fma_f64 v[4:5], v[40:41], v[82:83], -v[84:85]
	v_mul_f64 v[82:83], v[60:61], v[20:21]
	v_mul_f64 v[20:21], v[58:59], v[20:21]
	v_fma_f64 v[38:39], v[42:43], v[0:1], v[140:141]
	v_fma_f64 v[40:41], v[44:45], v[0:1], -v[142:143]
	v_mul_f64 v[0:1], v[64:65], v[24:25]
	v_mul_f64 v[24:25], v[62:63], v[24:25]
	;; [unrolled: 4-line block ×4, first 2 shown]
	v_mul_f64 v[50:51], v[76:77], v[36:37]
	v_mul_f64 v[36:37], v[74:75], v[36:37]
	v_fma_f64 v[12:13], v[54:55], v[14:15], v[150:151]
	s_waitcnt vmcnt(10)
	v_mul_f64 v[52:53], v[80:81], v[96:97]
	v_mul_f64 v[54:55], v[78:79], v[96:97]
	v_fma_f64 v[14:15], v[56:57], v[14:15], -v[16:17]
	s_waitcnt vmcnt(8)
	v_mul_f64 v[56:57], v[100:101], v[104:105]
	v_mul_f64 v[84:85], v[98:99], v[104:105]
	v_fma_f64 v[8:9], v[86:87], v[90:91], v[138:139]
	s_waitcnt vmcnt(6)
	v_mul_f64 v[86:87], v[108:109], v[112:113]
	v_mul_f64 v[96:97], v[106:107], v[112:113]
	s_waitcnt vmcnt(4)
	v_mul_f64 v[104:105], v[116:117], v[120:121]
	v_mul_f64 v[112:113], v[114:115], v[120:121]
	s_waitcnt vmcnt(2)
	v_mul_f64 v[120:121], v[124:125], v[128:129]
	v_mul_f64 v[128:129], v[122:123], v[128:129]
	s_waitcnt vmcnt(0)
	v_mul_f64 v[138:139], v[136:137], v[132:133]
	v_mul_f64 v[132:133], v[134:135], v[132:133]
	v_fma_f64 v[16:17], v[58:59], v[18:19], v[82:83]
	v_fma_f64 v[18:19], v[60:61], v[18:19], -v[20:21]
	v_fma_f64 v[20:21], v[62:63], v[22:23], v[0:1]
	v_fma_f64 v[22:23], v[64:65], v[22:23], -v[24:25]
	;; [unrolled: 2-line block ×11, first 2 shown]
	v_fma_f64 v[10:11], v[88:89], v[90:91], -v[92:93]
	ds_write_b128 v255, v[2:5]
	ds_write_b128 v255, v[38:41] offset:1920
	ds_write_b128 v255, v[42:45] offset:3840
	;; [unrolled: 1-line block ×16, first 2 shown]
.LBB0_3:
	s_or_b32 exec_lo, exec_lo, s1
	s_clause 0x1
	s_load_dwordx2 s[0:1], s[4:5], 0x20
	s_load_dwordx2 s[2:3], s[4:5], 0x8
	s_waitcnt lgkmcnt(0)
	s_waitcnt_vscnt null, 0x0
	s_barrier
	buffer_gl0_inv
                                        ; implicit-def: $vgpr0_vgpr1
                                        ; implicit-def: $vgpr24_vgpr25
                                        ; implicit-def: $vgpr28_vgpr29
                                        ; implicit-def: $vgpr48_vgpr49
                                        ; implicit-def: $vgpr76_vgpr77
                                        ; implicit-def: $vgpr40_vgpr41
                                        ; implicit-def: $vgpr20_vgpr21
                                        ; implicit-def: $vgpr16_vgpr17
                                        ; implicit-def: $vgpr12_vgpr13
                                        ; implicit-def: $vgpr8_vgpr9
                                        ; implicit-def: $vgpr4_vgpr5
                                        ; implicit-def: $vgpr84_vgpr85
                                        ; implicit-def: $vgpr80_vgpr81
                                        ; implicit-def: $vgpr56_vgpr57
                                        ; implicit-def: $vgpr52_vgpr53
                                        ; implicit-def: $vgpr36_vgpr37
                                        ; implicit-def: $vgpr32_vgpr33
	s_and_saveexec_b32 s4, vcc_lo
	s_cbranch_execz .LBB0_5
; %bb.4:
	ds_read_b128 v[0:3], v255
	ds_read_b128 v[32:35], v255 offset:1920
	ds_read_b128 v[36:39], v255 offset:3840
	;; [unrolled: 1-line block ×16, first 2 shown]
.LBB0_5:
	s_or_b32 exec_lo, exec_lo, s4
	s_waitcnt lgkmcnt(0)
	v_add_f64 v[146:147], v[34:35], -v[6:7]
	v_add_f64 v[158:159], v[32:33], -v[4:5]
	s_mov_b32 s4, 0x5d8e7cdc
	s_mov_b32 s5, 0xbfd71e95
	v_add_f64 v[96:97], v[38:39], -v[10:11]
	v_add_f64 v[90:91], v[36:37], -v[8:9]
	s_mov_b32 s6, 0x2a9d6da3
	s_mov_b32 s7, 0xbfe58eea
	;; [unrolled: 4-line block ×4, first 2 shown]
	v_add_f64 v[144:145], v[4:5], v[32:33]
	v_add_f64 v[156:157], v[6:7], v[34:35]
	s_mov_b32 s8, 0x370991
	s_mov_b32 s9, 0x3fedd6d0
	v_add_f64 v[88:89], v[8:9], v[36:37]
	v_add_f64 v[104:105], v[10:11], v[38:39]
	v_mul_f64 v[44:45], v[146:147], s[4:5]
	v_mul_f64 v[46:47], v[158:159], s[4:5]
	s_mov_b32 s16, 0x75d4884
	s_mov_b32 s17, 0x3fe7a5f6
	v_mul_f64 v[60:61], v[96:97], s[6:7]
	v_mul_f64 v[62:63], v[90:91], s[6:7]
	v_add_f64 v[134:135], v[26:27], v[14:15]
	s_mov_b32 s18, 0x2b2883cd
	v_mul_f64 v[64:65], v[98:99], s[10:11]
	v_mul_f64 v[68:69], v[94:95], s[10:11]
	s_mov_b32 s19, 0x3fdc86fa
	v_add_f64 v[138:139], v[30:31], v[18:19]
	v_mul_f64 v[66:67], v[130:131], s[20:21]
	v_mul_f64 v[70:71], v[102:103], s[20:21]
	s_mov_b32 s22, 0x3259b75e
	s_mov_b32 s23, 0x3fb79ee6
	v_add_f64 v[140:141], v[54:55], -v[22:23]
	s_mov_b32 s26, 0x923c349f
	s_mov_b32 s27, 0xbfeec746
	v_add_f64 v[92:93], v[24:25], v[12:13]
	v_add_f64 v[100:101], v[28:29], v[16:17]
	;; [unrolled: 1-line block ×3, first 2 shown]
	buffer_store_dword v44, off, s[60:63], 0 offset:60 ; 4-byte Folded Spill
	buffer_store_dword v45, off, s[60:63], 0 offset:64 ; 4-byte Folded Spill
	buffer_store_dword v46, off, s[60:63], 0 offset:252 ; 4-byte Folded Spill
	buffer_store_dword v47, off, s[60:63], 0 offset:256 ; 4-byte Folded Spill
	buffer_store_dword v60, off, s[60:63], 0 offset:12 ; 4-byte Folded Spill
	buffer_store_dword v61, off, s[60:63], 0 offset:16 ; 4-byte Folded Spill
	buffer_store_dword v62, off, s[60:63], 0 offset:44 ; 4-byte Folded Spill
	buffer_store_dword v63, off, s[60:63], 0 offset:48 ; 4-byte Folded Spill
	buffer_store_dword v64, off, s[60:63], 0 offset:28 ; 4-byte Folded Spill
	buffer_store_dword v65, off, s[60:63], 0 offset:32 ; 4-byte Folded Spill
	buffer_store_dword v68, off, s[60:63], 0 offset:92 ; 4-byte Folded Spill
	buffer_store_dword v69, off, s[60:63], 0 offset:96 ; 4-byte Folded Spill
	buffer_store_dword v66, off, s[60:63], 0 offset:76 ; 4-byte Folded Spill
	buffer_store_dword v67, off, s[60:63], 0 offset:80 ; 4-byte Folded Spill
	buffer_store_dword v70, off, s[60:63], 0 offset:108 ; 4-byte Folded Spill
	buffer_store_dword v71, off, s[60:63], 0 offset:112 ; 4-byte Folded Spill
	s_mov_b32 s24, 0xc61f0d01
	s_mov_b32 s25, 0xbfd183b1
	v_add_f64 v[114:115], v[52:53], -v[20:21]
	v_add_f64 v[142:143], v[22:23], v[54:55]
	v_add_f64 v[116:117], v[58:59], -v[42:43]
	s_mov_b32 s36, 0x6c9a05f6
	s_mov_b32 s37, 0xbfe9895b
	v_add_f64 v[110:111], v[40:41], v[56:57]
	s_mov_b32 s34, 0x6ed5f1bb
	s_mov_b32 s35, 0xbfe348c8
	v_add_f64 v[118:119], v[56:57], -v[40:41]
	v_add_f64 v[122:123], v[42:43], v[58:59]
	v_add_f64 v[120:121], v[50:51], -v[86:87]
	s_mov_b32 s40, 0x4363dd80
	s_mov_b32 s41, 0x3fe0d888
	;; [unrolled: 1-line block ×4, first 2 shown]
	v_add_f64 v[106:107], v[48:49], v[84:85]
	s_mov_b32 s38, 0x910ea3b9
	s_mov_b32 s39, 0xbfeb34fa
	v_add_f64 v[112:113], v[48:49], -v[84:85]
	v_add_f64 v[126:127], v[50:51], v[86:87]
	v_add_f64 v[132:133], v[78:79], -v[82:83]
	s_mov_b32 s30, 0xacd6c6b4
	s_mov_b32 s31, 0xbfc7851a
	v_add_f64 v[124:125], v[76:77], v[80:81]
	s_mov_b32 s28, 0x7faef3
	s_mov_b32 s29, 0xbfef7484
	v_add_f64 v[128:129], v[76:77], -v[80:81]
	v_add_f64 v[136:137], v[78:79], v[82:83]
	v_mul_f64 v[194:195], v[146:147], s[6:7]
	v_mul_f64 v[196:197], v[158:159], s[6:7]
	;; [unrolled: 1-line block ×4, first 2 shown]
	s_mov_b32 s43, 0x3feec746
	s_mov_b32 s42, s26
	;; [unrolled: 1-line block ×3, first 2 shown]
	v_mul_f64 v[212:213], v[116:117], s[42:43]
	v_mul_f64 v[226:227], v[118:119], s[42:43]
	s_mov_b32 s44, s10
	s_mov_b32 s53, 0x3fd71e95
	v_mul_f64 v[214:215], v[120:121], s[44:45]
	v_mul_f64 v[228:229], v[112:113], s[44:45]
	s_mov_b32 s52, s4
	v_mul_f64 v[198:199], v[146:147], s[10:11]
	v_mul_f64 v[216:217], v[132:133], s[52:53]
	;; [unrolled: 1-line block ×4, first 2 shown]
	s_mov_b32 s47, 0x3fc7851a
	s_mov_b32 s46, s30
	v_mul_f64 v[230:231], v[128:129], s[52:53]
	v_mul_f64 v[222:223], v[98:99], s[46:47]
	;; [unrolled: 1-line block ×5, first 2 shown]
	s_mov_b32 s51, 0x3fe58eea
	s_mov_b32 s50, s6
	v_mul_f64 v[247:248], v[116:117], s[4:5]
	v_mul_f64 v[245:246], v[140:141], s[50:51]
	;; [unrolled: 1-line block ×20, first 2 shown]
	s_mov_b32 s57, 0x3fe9895b
	s_mov_b32 s56, s36
	v_mul_f64 v[160:161], v[132:133], s[50:51]
	v_mul_f64 v[166:167], v[120:121], s[56:57]
	;; [unrolled: 1-line block ×8, first 2 shown]
	s_mov_b32 s55, 0x3fefdd0d
	s_mov_b32 s54, s20
	v_fma_f64 v[72:73], v[104:105], s[28:29], -v[150:151]
	v_fma_f64 v[148:149], v[104:105], s[38:39], -v[176:177]
	v_fma_f64 v[44:45], v[144:145], s[8:9], v[44:45]
	v_fma_f64 v[46:47], v[156:157], s[8:9], -v[46:47]
	v_fma_f64 v[60:61], v[88:89], s[16:17], v[60:61]
	v_fma_f64 v[62:63], v[104:105], s[16:17], -v[62:63]
	v_fma_f64 v[64:65], v[92:93], s[18:19], v[64:65]
	v_add_f64 v[44:45], v[0:1], v[44:45]
	v_add_f64 v[46:47], v[2:3], v[46:47]
	;; [unrolled: 1-line block ×4, first 2 shown]
	v_fma_f64 v[60:61], v[134:135], s[18:19], -v[68:69]
	v_fma_f64 v[62:63], v[100:101], s[22:23], v[66:67]
	v_fma_f64 v[68:69], v[104:105], s[34:35], -v[234:235]
	v_add_f64 v[44:45], v[64:65], v[44:45]
	v_add_f64 v[46:47], v[60:61], v[46:47]
	v_fma_f64 v[60:61], v[138:139], s[22:23], -v[70:71]
	v_add_f64 v[44:45], v[62:63], v[44:45]
	v_add_f64 v[46:47], v[60:61], v[46:47]
	v_mul_f64 v[60:61], v[140:141], s[26:27]
	buffer_store_dword v60, off, s[60:63], 0 offset:236 ; 4-byte Folded Spill
	buffer_store_dword v61, off, s[60:63], 0 offset:240 ; 4-byte Folded Spill
	v_fma_f64 v[60:61], v[108:109], s[24:25], v[60:61]
	v_add_f64 v[44:45], v[60:61], v[44:45]
	v_mul_f64 v[60:61], v[114:115], s[26:27]
	buffer_store_dword v60, off, s[60:63], 0 offset:268 ; 4-byte Folded Spill
	buffer_store_dword v61, off, s[60:63], 0 offset:272 ; 4-byte Folded Spill
	v_fma_f64 v[60:61], v[142:143], s[24:25], -v[60:61]
	v_add_f64 v[46:47], v[60:61], v[46:47]
	v_mul_f64 v[60:61], v[116:117], s[36:37]
	buffer_store_dword v60, off, s[60:63], 0 offset:284 ; 4-byte Folded Spill
	buffer_store_dword v61, off, s[60:63], 0 offset:288 ; 4-byte Folded Spill
	v_fma_f64 v[60:61], v[110:111], s[34:35], v[60:61]
	v_add_f64 v[44:45], v[60:61], v[44:45]
	v_mul_f64 v[60:61], v[118:119], s[36:37]
	buffer_store_dword v60, off, s[60:63], 0 offset:300 ; 4-byte Folded Spill
	buffer_store_dword v61, off, s[60:63], 0 offset:304 ; 4-byte Folded Spill
	v_fma_f64 v[60:61], v[122:123], s[34:35], -v[60:61]
	;; [unrolled: 10-line block ×3, first 2 shown]
	v_add_f64 v[46:47], v[60:61], v[46:47]
	v_mul_f64 v[60:61], v[132:133], s[30:31]
	buffer_store_dword v60, off, s[60:63], 0 offset:316 ; 4-byte Folded Spill
	buffer_store_dword v61, off, s[60:63], 0 offset:320 ; 4-byte Folded Spill
	v_fma_f64 v[60:61], v[124:125], s[28:29], v[60:61]
	v_add_f64 v[64:65], v[60:61], v[44:45]
	v_mul_f64 v[44:45], v[128:129], s[30:31]
	v_mul_f64 v[60:61], v[90:91], s[20:21]
	buffer_store_dword v44, off, s[60:63], 0 offset:340 ; 4-byte Folded Spill
	buffer_store_dword v45, off, s[60:63], 0 offset:344 ; 4-byte Folded Spill
	v_fma_f64 v[44:45], v[136:137], s[28:29], -v[44:45]
	v_add_f64 v[66:67], v[44:45], v[46:47]
	v_mul_f64 v[46:47], v[96:97], s[20:21]
	v_fma_f64 v[44:45], v[144:145], s[16:17], v[194:195]
	buffer_store_dword v46, off, s[60:63], 0 offset:324 ; 4-byte Folded Spill
	buffer_store_dword v47, off, s[60:63], 0 offset:328 ; 4-byte Folded Spill
	;; [unrolled: 1-line block ×4, first 2 shown]
	v_add_f64 v[44:45], v[0:1], v[44:45]
	v_fma_f64 v[46:47], v[88:89], s[22:23], v[46:47]
	v_fma_f64 v[60:61], v[104:105], s[22:23], -v[60:61]
	v_add_f64 v[44:45], v[46:47], v[44:45]
	v_fma_f64 v[46:47], v[156:157], s[16:17], -v[196:197]
	v_add_f64 v[46:47], v[2:3], v[46:47]
	v_add_f64 v[46:47], v[60:61], v[46:47]
	v_mul_f64 v[60:61], v[98:99], s[36:37]
	buffer_store_dword v60, off, s[60:63], 0 offset:332 ; 4-byte Folded Spill
	buffer_store_dword v61, off, s[60:63], 0 offset:336 ; 4-byte Folded Spill
	v_fma_f64 v[60:61], v[92:93], s[34:35], v[60:61]
	v_add_f64 v[44:45], v[60:61], v[44:45]
	v_mul_f64 v[60:61], v[94:95], s[36:37]
	buffer_store_dword v60, off, s[60:63], 0 offset:408 ; 4-byte Folded Spill
	buffer_store_dword v61, off, s[60:63], 0 offset:412 ; 4-byte Folded Spill
	v_fma_f64 v[60:61], v[134:135], s[34:35], -v[60:61]
	v_add_f64 v[46:47], v[60:61], v[46:47]
	v_mul_f64 v[60:61], v[130:131], s[30:31]
	buffer_store_dword v60, off, s[60:63], 0 offset:356 ; 4-byte Folded Spill
	buffer_store_dword v61, off, s[60:63], 0 offset:360 ; 4-byte Folded Spill
	v_fma_f64 v[60:61], v[100:101], s[28:29], v[60:61]
	v_add_f64 v[44:45], v[60:61], v[44:45]
	v_fma_f64 v[60:61], v[138:139], s[28:29], -v[218:219]
	v_add_f64 v[46:47], v[60:61], v[46:47]
	v_mul_f64 v[60:61], v[140:141], s[40:41]
	buffer_store_dword v60, off, s[60:63], 0 offset:392 ; 4-byte Folded Spill
	buffer_store_dword v61, off, s[60:63], 0 offset:396 ; 4-byte Folded Spill
	v_fma_f64 v[60:61], v[108:109], s[38:39], v[60:61]
	v_add_f64 v[44:45], v[60:61], v[44:45]
	v_fma_f64 v[60:61], v[142:143], s[38:39], -v[220:221]
	v_add_f64 v[46:47], v[60:61], v[46:47]
	v_fma_f64 v[60:61], v[110:111], s[24:25], v[212:213]
	v_add_f64 v[44:45], v[60:61], v[44:45]
	v_fma_f64 v[60:61], v[122:123], s[24:25], -v[226:227]
	v_add_f64 v[46:47], v[60:61], v[46:47]
	;; [unrolled: 4-line block ×4, first 2 shown]
	v_mul_f64 v[46:47], v[96:97], s[36:37]
	buffer_store_dword v46, off, s[60:63], 0 offset:424 ; 4-byte Folded Spill
	buffer_store_dword v47, off, s[60:63], 0 offset:428 ; 4-byte Folded Spill
	v_fma_f64 v[44:45], v[144:145], s[18:19], v[198:199]
	v_add_f64 v[44:45], v[0:1], v[44:45]
	v_fma_f64 v[46:47], v[88:89], s[34:35], v[46:47]
	v_add_f64 v[44:45], v[46:47], v[44:45]
	v_fma_f64 v[46:47], v[156:157], s[18:19], -v[200:201]
	v_add_f64 v[46:47], v[2:3], v[46:47]
	v_add_f64 v[46:47], v[68:69], v[46:47]
	v_fma_f64 v[68:69], v[92:93], s[28:29], v[222:223]
	v_add_f64 v[44:45], v[68:69], v[44:45]
	v_fma_f64 v[68:69], v[134:135], s[28:29], -v[249:250]
	v_add_f64 v[46:47], v[68:69], v[46:47]
	v_fma_f64 v[68:69], v[100:101], s[24:25], v[232:233]
	v_add_f64 v[44:45], v[68:69], v[44:45]
	v_fma_f64 v[68:69], v[138:139], s[24:25], -v[251:252]
	;; [unrolled: 4-line block ×6, first 2 shown]
	v_add_f64 v[70:71], v[44:45], v[46:47]
	v_fma_f64 v[44:45], v[144:145], s[22:23], v[202:203]
	v_fma_f64 v[46:47], v[88:89], s[28:29], v[224:225]
	v_add_f64 v[44:45], v[0:1], v[44:45]
	v_add_f64 v[44:45], v[46:47], v[44:45]
	v_fma_f64 v[46:47], v[156:157], s[22:23], -v[204:205]
	v_add_f64 v[46:47], v[2:3], v[46:47]
	v_add_f64 v[46:47], v[72:73], v[46:47]
	v_fma_f64 v[72:73], v[92:93], s[24:25], v[243:244]
	v_add_f64 v[44:45], v[72:73], v[44:45]
	v_fma_f64 v[72:73], v[134:135], s[24:25], -v[168:169]
	v_add_f64 v[46:47], v[72:73], v[46:47]
	v_fma_f64 v[72:73], v[100:101], s[8:9], v[253:254]
	v_add_f64 v[44:45], v[72:73], v[44:45]
	v_fma_f64 v[72:73], v[138:139], s[8:9], -v[174:175]
	;; [unrolled: 4-line block ×6, first 2 shown]
	v_add_f64 v[74:75], v[44:45], v[46:47]
	v_fma_f64 v[44:45], v[144:145], s[24:25], v[206:207]
	v_fma_f64 v[46:47], v[88:89], s[38:39], v[236:237]
	v_add_f64 v[44:45], v[0:1], v[44:45]
	v_add_f64 v[44:45], v[46:47], v[44:45]
	v_fma_f64 v[46:47], v[156:157], s[24:25], -v[208:209]
	v_add_f64 v[46:47], v[2:3], v[46:47]
	v_add_f64 v[46:47], v[148:149], v[46:47]
	v_mul_f64 v[148:149], v[98:99], s[50:51]
	v_fma_f64 v[184:185], v[92:93], s[16:17], v[148:149]
	v_add_f64 v[44:45], v[184:185], v[44:45]
	v_mul_f64 v[184:185], v[94:95], s[50:51]
	v_fma_f64 v[186:187], v[134:135], s[16:17], -v[184:185]
	v_add_f64 v[46:47], v[186:187], v[46:47]
	v_mul_f64 v[186:187], v[130:131], s[10:11]
	buffer_store_dword v186, off, s[60:63], 0 offset:124 ; 4-byte Folded Spill
	buffer_store_dword v187, off, s[60:63], 0 offset:128 ; 4-byte Folded Spill
	v_fma_f64 v[186:187], v[100:101], s[18:19], v[186:187]
	v_add_f64 v[44:45], v[186:187], v[44:45]
	v_mul_f64 v[186:187], v[102:103], s[10:11]
	v_fma_f64 v[188:189], v[138:139], s[18:19], -v[186:187]
	v_add_f64 v[46:47], v[188:189], v[46:47]
	v_mul_f64 v[188:189], v[140:141], s[30:31]
	buffer_store_dword v188, off, s[60:63], 0 offset:140 ; 4-byte Folded Spill
	buffer_store_dword v189, off, s[60:63], 0 offset:144 ; 4-byte Folded Spill
	;; [unrolled: 8-line block ×4, first 2 shown]
	v_fma_f64 v[210:211], v[106:107], s[8:9], v[210:211]
	v_add_f64 v[44:45], v[210:211], v[44:45]
	v_mul_f64 v[210:211], v[112:113], s[4:5]
	buffer_store_dword v210, off, s[60:63], 0 offset:204 ; 4-byte Folded Spill
	buffer_store_dword v211, off, s[60:63], 0 offset:208 ; 4-byte Folded Spill
	v_fma_f64 v[210:211], v[126:127], s[8:9], -v[210:211]
	v_add_f64 v[46:47], v[210:211], v[46:47]
	v_mul_f64 v[210:211], v[132:133], s[36:37]
	buffer_store_dword v210, off, s[60:63], 0 offset:188 ; 4-byte Folded Spill
	buffer_store_dword v211, off, s[60:63], 0 offset:192 ; 4-byte Folded Spill
	v_fma_f64 v[210:211], v[124:125], s[34:35], v[210:211]
	v_add_f64 v[44:45], v[210:211], v[44:45]
	v_mul_f64 v[210:211], v[128:129], s[36:37]
	buffer_store_dword v210, off, s[60:63], 0 offset:220 ; 4-byte Folded Spill
	buffer_store_dword v211, off, s[60:63], 0 offset:224 ; 4-byte Folded Spill
	s_waitcnt_vscnt null, 0x0
	s_barrier
	buffer_gl0_inv
	v_fma_f64 v[210:211], v[136:137], s[34:35], -v[210:211]
	v_add_f64 v[46:47], v[210:211], v[46:47]
	s_and_saveexec_b32 s33, vcc_lo
	s_cbranch_execz .LBB0_7
; %bb.6:
	v_add_f64 v[32:33], v[0:1], v[32:33]
	v_add_f64 v[34:35], v[2:3], v[34:35]
	v_mul_f64 v[210:211], v[122:123], s[24:25]
	v_add_f64 v[32:33], v[36:37], v[32:33]
	v_add_f64 v[34:35], v[38:39], v[34:35]
	s_clause 0x1
	buffer_load_dword v38, off, s[60:63], 0 offset:252
	buffer_load_dword v39, off, s[60:63], 0 offset:256
	v_mul_f64 v[36:37], v[156:157], s[8:9]
	v_add_f64 v[210:211], v[226:227], v[210:211]
	v_mul_f64 v[226:227], v[124:125], s[8:9]
	v_add_f64 v[24:25], v[24:25], v[32:33]
	v_add_f64 v[26:27], v[26:27], v[34:35]
	v_mul_f64 v[32:33], v[156:157], s[16:17]
	v_mul_f64 v[34:35], v[144:145], s[16:17]
	v_add_f64 v[216:217], v[226:227], -v[216:217]
	v_mul_f64 v[226:227], v[104:105], s[34:35]
	v_add_f64 v[24:25], v[28:29], v[24:25]
	v_add_f64 v[26:27], v[30:31], v[26:27]
	v_mul_f64 v[28:29], v[156:157], s[18:19]
	v_add_f64 v[32:33], v[196:197], v[32:33]
	v_mul_f64 v[30:31], v[144:145], s[18:19]
	v_add_f64 v[34:35], v[34:35], -v[194:195]
	v_mul_f64 v[194:195], v[104:105], s[22:23]
	v_mul_f64 v[196:197], v[88:89], s[22:23]
	v_add_f64 v[226:227], v[234:235], v[226:227]
	v_mul_f64 v[234:235], v[142:143], s[16:17]
	v_add_f64 v[24:25], v[52:53], v[24:25]
	v_add_f64 v[26:27], v[54:55], v[26:27]
	v_add_f64 v[28:29], v[200:201], v[28:29]
	v_mul_f64 v[54:55], v[144:145], s[8:9]
	v_add_f64 v[32:33], v[2:3], v[32:33]
	v_add_f64 v[30:31], v[30:31], -v[198:199]
	v_add_f64 v[34:35], v[0:1], v[34:35]
	v_mul_f64 v[198:199], v[134:135], s[34:35]
	v_mul_f64 v[200:201], v[92:93], s[34:35]
	v_add_f64 v[172:173], v[172:173], v[234:235]
	v_mul_f64 v[234:235], v[138:139], s[24:25]
	v_add_f64 v[24:25], v[56:57], v[24:25]
	v_add_f64 v[26:27], v[58:59], v[26:27]
	s_clause 0x1
	buffer_load_dword v56, off, s[60:63], 0 offset:60
	buffer_load_dword v57, off, s[60:63], 0 offset:64
	v_add_f64 v[28:29], v[2:3], v[28:29]
	v_add_f64 v[30:31], v[0:1], v[30:31]
	;; [unrolled: 1-line block ×3, first 2 shown]
	v_mul_f64 v[251:252], v[122:123], s[38:39]
	v_add_f64 v[24:25], v[48:49], v[24:25]
	v_add_f64 v[26:27], v[50:51], v[26:27]
	;; [unrolled: 1-line block ×4, first 2 shown]
	v_mul_f64 v[251:252], v[110:111], s[38:39]
	v_add_f64 v[24:25], v[76:77], v[24:25]
	v_add_f64 v[26:27], v[78:79], v[26:27]
	v_mul_f64 v[76:77], v[138:139], s[22:23]
	v_mul_f64 v[78:79], v[100:101], s[22:23]
	v_add_f64 v[164:165], v[251:252], -v[164:165]
	v_mul_f64 v[251:252], v[126:127], s[34:35]
	v_add_f64 v[24:25], v[80:81], v[24:25]
	v_add_f64 v[26:27], v[82:83], v[26:27]
	v_mul_f64 v[80:81], v[142:143], s[24:25]
	v_mul_f64 v[82:83], v[108:109], s[24:25]
	v_add_f64 v[182:183], v[182:183], v[251:252]
	v_mul_f64 v[251:252], v[106:107], s[34:35]
	v_add_f64 v[24:25], v[84:85], v[24:25]
	v_add_f64 v[26:27], v[86:87], v[26:27]
	v_mul_f64 v[84:85], v[122:123], s[34:35]
	v_mul_f64 v[86:87], v[110:111], s[34:35]
	v_add_f64 v[166:167], v[251:252], -v[166:167]
	v_mul_f64 v[251:252], v[136:137], s[16:17]
	v_add_f64 v[24:25], v[40:41], v[24:25]
	v_add_f64 v[26:27], v[42:43], v[26:27]
	v_mul_f64 v[42:43], v[146:147], s[36:37]
	v_mul_f64 v[40:41], v[146:147], s[48:49]
	v_add_f64 v[178:179], v[178:179], v[251:252]
	v_mul_f64 v[251:252], v[124:125], s[16:17]
	v_add_f64 v[20:21], v[20:21], v[24:25]
	v_add_f64 v[22:23], v[22:23], v[26:27]
	v_mul_f64 v[24:25], v[156:157], s[22:23]
	v_fma_f64 v[52:53], v[144:145], s[34:35], v[42:43]
	v_fma_f64 v[42:43], v[144:145], s[34:35], -v[42:43]
	v_mul_f64 v[26:27], v[144:145], s[22:23]
	v_fma_f64 v[50:51], v[144:145], s[38:39], v[40:41]
	v_fma_f64 v[40:41], v[144:145], s[38:39], -v[40:41]
	v_add_f64 v[160:161], v[251:252], -v[160:161]
	v_mul_f64 v[251:252], v[122:123], s[22:23]
	v_add_f64 v[16:17], v[16:17], v[20:21]
	v_add_f64 v[18:19], v[18:19], v[22:23]
	v_mul_f64 v[20:21], v[156:157], s[24:25]
	v_add_f64 v[24:25], v[204:205], v[24:25]
	v_mul_f64 v[22:23], v[144:145], s[24:25]
	v_add_f64 v[26:27], v[26:27], -v[202:203]
	v_add_f64 v[50:51], v[0:1], v[50:51]
	v_add_f64 v[40:41], v[0:1], v[40:41]
	v_mul_f64 v[204:205], v[100:101], s[28:29]
	v_mul_f64 v[202:203], v[138:139], s[28:29]
	v_add_f64 v[192:193], v[192:193], v[251:252]
	v_mul_f64 v[251:252], v[104:105], s[38:39]
	v_add_f64 v[12:13], v[12:13], v[16:17]
	v_add_f64 v[14:15], v[14:15], v[18:19]
	v_mul_f64 v[16:17], v[156:157], s[34:35]
	v_add_f64 v[20:21], v[208:209], v[20:21]
	v_add_f64 v[24:25], v[2:3], v[24:25]
	v_add_f64 v[22:23], v[22:23], -v[206:207]
	v_add_f64 v[26:27], v[0:1], v[26:27]
	v_mul_f64 v[208:209], v[108:109], s[38:39]
	v_mul_f64 v[206:207], v[142:143], s[38:39]
	v_add_f64 v[202:203], v[218:219], v[202:203]
	v_mul_f64 v[218:219], v[110:111], s[24:25]
	v_add_f64 v[176:177], v[176:177], v[251:252]
	;; [unrolled: 2-line block ×3, first 2 shown]
	v_add_f64 v[10:11], v[10:11], v[14:15]
	v_fma_f64 v[18:19], v[158:159], s[56:57], v[16:17]
	v_mul_f64 v[12:13], v[156:157], s[38:39]
	v_fma_f64 v[16:17], v[158:159], s[36:37], v[16:17]
	v_add_f64 v[20:21], v[2:3], v[20:21]
	v_add_f64 v[22:23], v[0:1], v[22:23]
	;; [unrolled: 1-line block ×3, first 2 shown]
	v_mul_f64 v[220:221], v[106:107], s[18:19]
	v_add_f64 v[212:213], v[218:219], -v[212:213]
	v_mul_f64 v[218:219], v[126:127], s[18:19]
	v_add_f64 v[184:185], v[184:185], v[251:252]
	v_mul_f64 v[251:252], v[138:139], s[18:19]
	v_add_f64 v[4:5], v[4:5], v[8:9]
	;; [unrolled: 2-line block ×3, first 2 shown]
	v_fma_f64 v[14:15], v[158:159], s[40:41], v[12:13]
	v_fma_f64 v[12:13], v[158:159], s[48:49], v[12:13]
	v_add_f64 v[16:17], v[2:3], v[16:17]
	v_mul_f64 v[156:157], v[136:137], s[28:29]
	v_add_f64 v[20:21], v[176:177], v[20:21]
	v_add_f64 v[214:215], v[220:221], -v[214:215]
	v_mul_f64 v[220:221], v[136:137], s[8:9]
	v_add_f64 v[218:219], v[228:229], v[218:219]
	v_mul_f64 v[228:229], v[134:135], s[28:29]
	s_waitcnt vmcnt(2)
	v_add_f64 v[36:37], v[38:39], v[36:37]
	v_mul_f64 v[38:39], v[146:147], s[30:31]
	v_mul_f64 v[146:147], v[106:107], s[38:39]
	v_add_f64 v[186:187], v[186:187], v[251:252]
	v_mul_f64 v[251:252], v[142:143], s[28:29]
	v_fma_f64 v[10:11], v[158:159], s[46:47], v[8:9]
	v_fma_f64 v[8:9], v[158:159], s[30:31], v[8:9]
	v_add_f64 v[14:15], v[2:3], v[14:15]
	v_add_f64 v[12:13], v[2:3], v[12:13]
	v_mul_f64 v[158:159], v[124:125], s[28:29]
	v_add_f64 v[20:21], v[184:185], v[20:21]
	v_add_f64 v[220:221], v[230:231], v[220:221]
	v_mul_f64 v[230:231], v[88:89], s[34:35]
	v_add_f64 v[228:229], v[249:250], v[228:229]
	v_mul_f64 v[249:250], v[92:93], s[28:29]
	v_fma_f64 v[48:49], v[144:145], s[28:29], v[38:39]
	v_fma_f64 v[38:39], v[144:145], s[28:29], -v[38:39]
	v_mul_f64 v[144:145], v[126:127], s[38:39]
	v_add_f64 v[188:189], v[188:189], v[251:252]
	v_mul_f64 v[251:252], v[88:89], s[38:39]
	v_add_f64 v[58:59], v[2:3], v[8:9]
	v_add_f64 v[8:9], v[2:3], v[18:19]
	;; [unrolled: 1-line block ×3, first 2 shown]
	v_mul_f64 v[42:43], v[88:89], s[16:17]
	buffer_store_dword v8, off, s[60:63], 0 offset:60 ; 4-byte Folded Spill
	buffer_store_dword v9, off, s[60:63], 0 offset:64 ; 4-byte Folded Spill
	s_clause 0x1
	buffer_load_dword v8, off, s[60:63], 0 offset:44
	buffer_load_dword v9, off, s[60:63], 0 offset:48
	v_add_f64 v[48:49], v[0:1], v[48:49]
	v_add_f64 v[38:39], v[0:1], v[38:39]
	v_add_f64 v[222:223], v[249:250], -v[222:223]
	v_mul_f64 v[249:250], v[100:101], s[24:25]
	v_add_f64 v[236:237], v[251:252], -v[236:237]
	v_mul_f64 v[251:252], v[92:93], s[16:17]
	v_add_f64 v[20:21], v[186:187], v[20:21]
	v_add_f64 v[28:29], v[228:229], v[28:29]
	v_add_f64 v[232:233], v[249:250], -v[232:233]
	v_mul_f64 v[249:250], v[108:109], s[16:17]
	v_add_f64 v[148:149], v[251:252], -v[148:149]
	v_mul_f64 v[251:252], v[104:105], s[8:9]
	v_add_f64 v[22:23], v[236:237], v[22:23]
	v_add_f64 v[28:29], v[234:235], v[28:29]
	s_waitcnt vmcnt(2)
	v_add_f64 v[54:55], v[54:55], -v[56:57]
	v_add_f64 v[56:57], v[2:3], v[10:11]
	v_add_f64 v[2:3], v[2:3], v[36:37]
	v_mul_f64 v[36:37], v[104:105], s[16:17]
	v_add_f64 v[10:11], v[0:1], v[52:53]
	v_mul_f64 v[52:53], v[134:135], s[18:19]
	v_add_f64 v[245:246], v[249:250], -v[245:246]
	v_mul_f64 v[249:250], v[122:123], s[8:9]
	v_add_f64 v[28:29], v[172:173], v[28:29]
	v_add_f64 v[0:1], v[0:1], v[54:55]
	v_mul_f64 v[54:55], v[92:93], s[18:19]
	v_add_f64 v[162:163], v[162:163], v[249:250]
	v_mul_f64 v[249:250], v[110:111], s[8:9]
	v_add_f64 v[28:29], v[162:163], v[28:29]
	v_add_f64 v[247:248], v[249:250], -v[247:248]
	v_mul_f64 v[249:250], v[126:127], s[22:23]
	v_add_f64 v[154:155], v[154:155], v[249:250]
	v_mul_f64 v[249:250], v[106:107], s[22:23]
	v_add_f64 v[28:29], v[154:155], v[28:29]
	v_add_f64 v[240:241], v[249:250], -v[241:242]
	v_mul_f64 v[249:250], v[136:137], s[38:39]
	v_add_f64 v[152:153], v[152:153], v[249:250]
	v_mul_f64 v[249:250], v[124:125], s[38:39]
	v_add_f64 v[238:239], v[249:250], -v[238:239]
	v_mul_f64 v[249:250], v[142:143], s[18:19]
	v_add_f64 v[190:191], v[190:191], v[249:250]
	v_mul_f64 v[249:250], v[104:105], s[28:29]
	v_add_f64 v[150:151], v[150:151], v[249:250]
	v_mul_f64 v[249:250], v[134:135], s[24:25]
	v_add_f64 v[24:25], v[150:151], v[24:25]
	v_add_f64 v[168:169], v[168:169], v[249:250]
	v_mul_f64 v[249:250], v[138:139], s[8:9]
	v_add_f64 v[24:25], v[168:169], v[24:25]
	v_add_f64 v[174:175], v[174:175], v[249:250]
	v_mul_f64 v[249:250], v[88:89], s[28:29]
	v_add_f64 v[24:25], v[174:175], v[24:25]
	v_add_f64 v[224:225], v[249:250], -v[224:225]
	v_mul_f64 v[249:250], v[92:93], s[24:25]
	s_waitcnt vmcnt(0)
	v_add_f64 v[36:37], v[8:9], v[36:37]
	s_clause 0x1
	buffer_load_dword v8, off, s[60:63], 0 offset:12
	buffer_load_dword v9, off, s[60:63], 0 offset:16
	v_add_f64 v[24:25], v[190:191], v[24:25]
	v_add_f64 v[26:27], v[224:225], v[26:27]
	v_add_f64 v[242:243], v[249:250], -v[243:244]
	v_mul_f64 v[249:250], v[108:109], s[18:19]
	v_add_f64 v[2:3], v[36:37], v[2:3]
	v_mul_f64 v[36:37], v[134:135], s[38:39]
	v_add_f64 v[24:25], v[180:181], v[24:25]
	v_add_f64 v[26:27], v[242:243], v[26:27]
	v_add_f64 v[170:171], v[249:250], -v[170:171]
	v_mul_f64 v[249:250], v[100:101], s[8:9]
	v_add_f64 v[24:25], v[182:183], v[24:25]
	v_add_f64 v[249:250], v[249:250], -v[253:254]
	v_fma_f64 v[253:254], v[90:91], s[4:5], v[251:252]
	v_add_f64 v[26:27], v[249:250], v[26:27]
	v_add_f64 v[56:57], v[253:254], v[56:57]
	v_mul_f64 v[253:254], v[96:97], s[52:53]
	v_add_f64 v[26:27], v[170:171], v[26:27]
	v_add_f64 v[26:27], v[164:165], v[26:27]
	s_waitcnt vmcnt(0)
	v_add_f64 v[42:43], v[42:43], -v[8:9]
	s_clause 0x1
	buffer_load_dword v8, off, s[60:63], 0 offset:92
	buffer_load_dword v9, off, s[60:63], 0 offset:96
	v_add_f64 v[0:1], v[42:43], v[0:1]
	v_fma_f64 v[42:43], v[94:95], s[40:41], v[36:37]
	v_fma_f64 v[36:37], v[94:95], s[48:49], v[36:37]
	v_add_f64 v[42:43], v[42:43], v[56:57]
	v_mul_f64 v[56:57], v[98:99], s[48:49]
	s_waitcnt vmcnt(0)
	v_add_f64 v[52:53], v[8:9], v[52:53]
	s_clause 0x1
	buffer_load_dword v8, off, s[60:63], 0 offset:28
	buffer_load_dword v9, off, s[60:63], 0 offset:32
	v_add_f64 v[2:3], v[52:53], v[2:3]
	s_waitcnt vmcnt(0)
	v_add_f64 v[54:55], v[54:55], -v[8:9]
	s_clause 0x1
	buffer_load_dword v8, off, s[60:63], 0 offset:108
	buffer_load_dword v9, off, s[60:63], 0 offset:112
	v_add_f64 v[0:1], v[54:55], v[0:1]
	s_waitcnt vmcnt(0)
	v_add_f64 v[76:77], v[8:9], v[76:77]
	s_clause 0x1
	buffer_load_dword v8, off, s[60:63], 0 offset:76
	buffer_load_dword v9, off, s[60:63], 0 offset:80
	v_add_f64 v[2:3], v[76:77], v[2:3]
	s_waitcnt vmcnt(0)
	v_add_f64 v[78:79], v[78:79], -v[8:9]
	s_clause 0x1
	buffer_load_dword v8, off, s[60:63], 0 offset:268
	buffer_load_dword v9, off, s[60:63], 0 offset:272
	v_add_f64 v[0:1], v[78:79], v[0:1]
	;; [unrolled: 12-line block ×4, first 2 shown]
	s_waitcnt vmcnt(0)
	v_add_f64 v[144:145], v[8:9], v[144:145]
	s_clause 0x1
	buffer_load_dword v8, off, s[60:63], 0 offset:292
	buffer_load_dword v9, off, s[60:63], 0 offset:296
	s_waitcnt vmcnt(0)
	v_add_f64 v[146:147], v[146:147], -v[8:9]
	s_clause 0x1
	buffer_load_dword v8, off, s[60:63], 0 offset:340
	buffer_load_dword v9, off, s[60:63], 0 offset:344
	s_waitcnt vmcnt(0)
	v_add_f64 v[156:157], v[8:9], v[156:157]
	s_clause 0x1
	buffer_load_dword v8, off, s[60:63], 0 offset:316
	buffer_load_dword v9, off, s[60:63], 0 offset:320
	s_waitcnt vmcnt(0)
	v_add_f64 v[158:159], v[158:159], -v[8:9]
	s_clause 0x1
	buffer_load_dword v8, off, s[60:63], 0 offset:376
	buffer_load_dword v9, off, s[60:63], 0 offset:380
	s_waitcnt vmcnt(0)
	v_add_f64 v[194:195], v[8:9], v[194:195]
	s_clause 0x1
	buffer_load_dword v8, off, s[60:63], 0 offset:324
	buffer_load_dword v9, off, s[60:63], 0 offset:328
	v_add_f64 v[32:33], v[194:195], v[32:33]
	s_waitcnt vmcnt(0)
	v_add_f64 v[196:197], v[196:197], -v[8:9]
	s_clause 0x1
	buffer_load_dword v8, off, s[60:63], 0 offset:408
	buffer_load_dword v9, off, s[60:63], 0 offset:412
	v_add_f64 v[34:35], v[196:197], v[34:35]
	s_waitcnt vmcnt(0)
	v_add_f64 v[198:199], v[8:9], v[198:199]
	s_clause 0x1
	buffer_load_dword v8, off, s[60:63], 0 offset:332
	buffer_load_dword v9, off, s[60:63], 0 offset:336
	v_add_f64 v[32:33], v[198:199], v[32:33]
	v_add_f64 v[32:33], v[202:203], v[32:33]
	;; [unrolled: 1-line block ×5, first 2 shown]
	s_waitcnt vmcnt(0)
	v_add_f64 v[200:201], v[200:201], -v[8:9]
	s_clause 0x1
	buffer_load_dword v8, off, s[60:63], 0 offset:356
	buffer_load_dword v9, off, s[60:63], 0 offset:360
	v_add_f64 v[34:35], v[200:201], v[34:35]
	s_waitcnt vmcnt(0)
	v_add_f64 v[204:205], v[204:205], -v[8:9]
	s_clause 0x1
	buffer_load_dword v8, off, s[60:63], 0 offset:392
	buffer_load_dword v9, off, s[60:63], 0 offset:396
	v_add_f64 v[34:35], v[204:205], v[34:35]
	;; [unrolled: 6-line block ×3, first 2 shown]
	v_add_f64 v[34:35], v[212:213], v[34:35]
	v_add_f64 v[34:35], v[214:215], v[34:35]
	s_waitcnt vmcnt(0)
	v_add_f64 v[230:231], v[230:231], -v[8:9]
	v_fma_f64 v[8:9], v[88:89], s[8:9], v[253:254]
	v_add_f64 v[30:31], v[230:231], v[30:31]
	v_add_f64 v[8:9], v[8:9], v[48:49]
	v_fma_f64 v[48:49], v[90:91], s[52:53], v[251:252]
	v_add_f64 v[30:31], v[222:223], v[30:31]
	v_add_f64 v[48:49], v[48:49], v[58:59]
	v_fma_f64 v[58:59], v[88:89], s[8:9], -v[253:254]
	v_add_f64 v[30:31], v[232:233], v[30:31]
	v_add_f64 v[36:37], v[36:37], v[48:49]
	;; [unrolled: 1-line block ×3, first 2 shown]
	v_fma_f64 v[48:49], v[92:93], s[38:39], -v[56:57]
	v_fma_f64 v[58:59], v[92:93], s[38:39], v[56:57]
	v_add_f64 v[30:31], v[245:246], v[30:31]
	v_add_f64 v[38:39], v[48:49], v[38:39]
	v_mul_f64 v[48:49], v[138:139], s[16:17]
	v_add_f64 v[8:9], v[58:59], v[8:9]
	v_add_f64 v[30:31], v[247:248], v[30:31]
	v_fma_f64 v[52:53], v[102:103], s[6:7], v[48:49]
	v_fma_f64 v[48:49], v[102:103], s[50:51], v[48:49]
	v_add_f64 v[30:31], v[240:241], v[30:31]
	v_add_f64 v[42:43], v[52:53], v[42:43]
	v_mul_f64 v[52:53], v[130:131], s[50:51]
	v_add_f64 v[36:37], v[48:49], v[36:37]
	v_fma_f64 v[48:49], v[100:101], s[16:17], -v[52:53]
	v_fma_f64 v[54:55], v[100:101], s[16:17], v[52:53]
	v_add_f64 v[38:39], v[48:49], v[38:39]
	v_mul_f64 v[48:49], v[142:143], s[34:35]
	v_add_f64 v[8:9], v[54:55], v[8:9]
	v_fma_f64 v[52:53], v[114:115], s[56:57], v[48:49]
	v_fma_f64 v[48:49], v[114:115], s[36:37], v[48:49]
	v_add_f64 v[42:43], v[52:53], v[42:43]
	v_mul_f64 v[52:53], v[140:141], s[36:37]
	v_add_f64 v[36:37], v[48:49], v[36:37]
	v_fma_f64 v[48:49], v[108:109], s[34:35], -v[52:53]
	v_fma_f64 v[54:55], v[108:109], s[34:35], v[52:53]
	v_add_f64 v[38:39], v[48:49], v[38:39]
	v_mul_f64 v[48:49], v[122:123], s[18:19]
	v_add_f64 v[8:9], v[54:55], v[8:9]
	v_fma_f64 v[52:53], v[118:119], s[10:11], v[48:49]
	v_fma_f64 v[48:49], v[118:119], s[44:45], v[48:49]
	;; [unrolled: 10-line block ×3, first 2 shown]
	v_add_f64 v[42:43], v[52:53], v[42:43]
	v_mul_f64 v[52:53], v[120:121], s[26:27]
	v_add_f64 v[36:37], v[48:49], v[36:37]
	v_fma_f64 v[48:49], v[106:107], s[24:25], -v[52:53]
	v_fma_f64 v[54:55], v[106:107], s[24:25], v[52:53]
	v_add_f64 v[52:53], v[146:147], v[0:1]
	v_mul_f64 v[0:1], v[100:101], s[18:19]
	v_add_f64 v[38:39], v[48:49], v[38:39]
	v_add_f64 v[48:49], v[144:145], v[2:3]
	s_clause 0x1
	buffer_load_dword v2, off, s[60:63], 0 offset:124
	buffer_load_dword v3, off, s[60:63], 0 offset:128
	v_add_f64 v[8:9], v[54:55], v[8:9]
	v_add_f64 v[54:55], v[166:167], v[26:27]
	s_clause 0x1
	buffer_load_dword v26, off, s[60:63], 0 offset:140
	buffer_load_dword v27, off, s[60:63], 0 offset:144
	s_waitcnt vmcnt(2)
	v_add_f64 v[0:1], v[0:1], -v[2:3]
	v_add_f64 v[2:3], v[148:149], v[22:23]
	v_mul_f64 v[22:23], v[108:109], s[28:29]
	v_add_f64 v[0:1], v[0:1], v[2:3]
	s_waitcnt vmcnt(0)
	v_add_f64 v[22:23], v[22:23], -v[26:27]
	s_clause 0x1
	buffer_load_dword v26, off, s[60:63], 0 offset:156
	buffer_load_dword v27, off, s[60:63], 0 offset:160
	v_add_f64 v[2:3], v[188:189], v[20:21]
	v_mul_f64 v[20:21], v[110:111], s[22:23]
	v_add_f64 v[0:1], v[22:23], v[0:1]
	v_mul_f64 v[22:23], v[126:127], s[8:9]
	v_add_f64 v[2:3], v[192:193], v[2:3]
	s_waitcnt vmcnt(0)
	v_add_f64 v[20:21], v[20:21], -v[26:27]
	s_clause 0x3
	buffer_load_dword v26, off, s[60:63], 0 offset:204
	buffer_load_dword v27, off, s[60:63], 0 offset:208
	;; [unrolled: 1-line block ×4, first 2 shown]
	v_add_f64 v[0:1], v[20:21], v[0:1]
	v_mul_f64 v[20:21], v[136:137], s[34:35]
	s_waitcnt vmcnt(2)
	v_add_f64 v[22:23], v[26:27], v[22:23]
	v_mul_f64 v[26:27], v[106:107], s[8:9]
	v_add_f64 v[58:59], v[22:23], v[2:3]
	s_waitcnt vmcnt(0)
	v_add_f64 v[26:27], v[26:27], -v[56:57]
	s_clause 0x1
	buffer_load_dword v56, off, s[60:63], 0 offset:220
	buffer_load_dword v57, off, s[60:63], 0 offset:224
	v_mul_f64 v[2:3], v[124:125], s[34:35]
	v_add_f64 v[78:79], v[26:27], v[0:1]
	v_mul_f64 v[0:1], v[104:105], s[24:25]
	v_mul_f64 v[104:105], v[104:105], s[18:19]
	s_waitcnt vmcnt(0)
	v_add_f64 v[56:57], v[56:57], v[20:21]
	s_clause 0x1
	buffer_load_dword v20, off, s[60:63], 0 offset:188
	buffer_load_dword v21, off, s[60:63], 0 offset:192
	s_waitcnt vmcnt(0)
	v_add_f64 v[76:77], v[2:3], -v[20:21]
	v_fma_f64 v[2:3], v[90:91], s[42:43], v[0:1]
	v_fma_f64 v[0:1], v[90:91], s[26:27], v[0:1]
	v_add_f64 v[2:3], v[2:3], v[16:17]
	v_mul_f64 v[16:17], v[134:135], s[8:9]
	v_mul_f64 v[134:135], v[134:135], s[22:23]
	v_fma_f64 v[20:21], v[94:95], s[4:5], v[16:17]
	v_fma_f64 v[16:17], v[94:95], s[52:53], v[16:17]
	v_add_f64 v[2:3], v[20:21], v[2:3]
	v_mul_f64 v[20:21], v[138:139], s[38:39]
	v_mul_f64 v[138:139], v[138:139], s[34:35]
	;; [unrolled: 5-line block ×3, first 2 shown]
	v_fma_f64 v[26:27], v[114:115], s[54:55], v[22:23]
	v_fma_f64 v[22:23], v[114:115], s[20:21], v[22:23]
	v_add_f64 v[2:3], v[26:27], v[2:3]
	v_mul_f64 v[26:27], v[122:123], s[16:17]
	v_fma_f64 v[80:81], v[118:119], s[6:7], v[26:27]
	v_fma_f64 v[26:27], v[118:119], s[50:51], v[26:27]
	v_add_f64 v[2:3], v[80:81], v[2:3]
	v_mul_f64 v[80:81], v[96:97], s[42:43]
	v_mul_f64 v[96:97], v[96:97], s[44:45]
	v_fma_f64 v[82:83], v[88:89], s[24:25], -v[80:81]
	v_fma_f64 v[80:81], v[88:89], s[24:25], v[80:81]
	v_add_f64 v[18:19], v[82:83], v[18:19]
	v_mul_f64 v[82:83], v[98:99], s[4:5]
	v_mul_f64 v[98:99], v[98:99], s[20:21]
	v_add_f64 v[10:11], v[80:81], v[10:11]
	v_fma_f64 v[84:85], v[92:93], s[8:9], -v[82:83]
	v_fma_f64 v[80:81], v[92:93], s[8:9], v[82:83]
	v_add_f64 v[18:19], v[84:85], v[18:19]
	v_mul_f64 v[84:85], v[130:131], s[48:49]
	v_mul_f64 v[130:131], v[130:131], s[56:57]
	v_add_f64 v[10:11], v[80:81], v[10:11]
	v_fma_f64 v[80:81], v[114:115], s[52:53], v[142:143]
	v_fma_f64 v[86:87], v[100:101], s[38:39], -v[84:85]
	v_fma_f64 v[82:83], v[100:101], s[34:35], v[130:131]
	v_add_f64 v[18:19], v[86:87], v[18:19]
	v_mul_f64 v[86:87], v[140:141], s[54:55]
	v_mul_f64 v[140:141], v[140:141], s[4:5]
	v_fma_f64 v[144:145], v[108:109], s[22:23], -v[86:87]
	v_add_f64 v[18:19], v[144:145], v[18:19]
	v_fma_f64 v[144:145], v[90:91], s[44:45], v[104:105]
	v_fma_f64 v[104:105], v[90:91], s[10:11], v[104:105]
	v_mul_f64 v[90:91], v[126:127], s[16:17]
	v_add_f64 v[12:13], v[144:145], v[12:13]
	v_fma_f64 v[144:145], v[88:89], s[18:19], -v[96:97]
	v_fma_f64 v[96:97], v[88:89], s[18:19], v[96:97]
	v_add_f64 v[14:15], v[104:105], v[14:15]
	v_fma_f64 v[88:89], v[102:103], s[36:37], v[138:139]
	v_add_f64 v[40:41], v[144:145], v[40:41]
	v_add_f64 v[50:51], v[96:97], v[50:51]
	v_fma_f64 v[96:97], v[94:95], s[54:55], v[134:135]
	v_fma_f64 v[144:145], v[94:95], s[20:21], v[134:135]
	v_mul_f64 v[94:95], v[132:133], s[44:45]
	v_add_f64 v[14:15], v[96:97], v[14:15]
	v_add_f64 v[12:13], v[144:145], v[12:13]
	v_fma_f64 v[144:145], v[92:93], s[22:23], -v[98:99]
	v_fma_f64 v[96:97], v[92:93], s[22:23], v[98:99]
	v_mul_f64 v[92:93], v[120:121], s[50:51]
	v_mul_f64 v[98:99], v[132:133], s[26:27]
	v_add_f64 v[14:15], v[88:89], v[14:15]
	s_clause 0x1
	buffer_load_dword v88, off, s[60:63], 0 offset:60
	buffer_load_dword v89, off, s[60:63], 0 offset:64
	v_add_f64 v[40:41], v[144:145], v[40:41]
	v_fma_f64 v[144:145], v[102:103], s[56:57], v[138:139]
	v_add_f64 v[50:51], v[96:97], v[50:51]
	v_mul_f64 v[96:97], v[136:137], s[24:25]
	v_add_f64 v[14:15], v[80:81], v[14:15]
	v_mul_f64 v[80:81], v[116:117], s[6:7]
	v_add_f64 v[12:13], v[144:145], v[12:13]
	v_fma_f64 v[144:145], v[100:101], s[34:35], -v[130:131]
	v_add_f64 v[50:51], v[82:83], v[50:51]
	v_mul_f64 v[82:83], v[122:123], s[28:29]
	v_add_f64 v[40:41], v[144:145], v[40:41]
	v_fma_f64 v[144:145], v[114:115], s[4:5], v[142:143]
	v_add_f64 v[12:13], v[144:145], v[12:13]
	v_fma_f64 v[144:145], v[108:109], s[8:9], -v[140:141]
	v_add_f64 v[40:41], v[144:145], v[40:41]
	s_waitcnt vmcnt(0)
	v_add_f64 v[0:1], v[0:1], v[88:89]
	v_mul_f64 v[88:89], v[120:121], s[30:31]
	v_add_f64 v[0:1], v[16:17], v[0:1]
	v_fma_f64 v[16:17], v[100:101], s[38:39], v[84:85]
	v_mul_f64 v[84:85], v[116:117], s[30:31]
	v_add_f64 v[0:1], v[20:21], v[0:1]
	v_add_f64 v[10:11], v[16:17], v[10:11]
	v_fma_f64 v[16:17], v[108:109], s[8:9], v[140:141]
	v_fma_f64 v[20:21], v[108:109], s[22:23], v[86:87]
	v_mul_f64 v[86:87], v[126:127], s[28:29]
	v_fma_f64 v[108:109], v[124:125], s[18:19], -v[94:95]
	v_fma_f64 v[94:95], v[124:125], s[18:19], v[94:95]
	v_add_f64 v[0:1], v[22:23], v[0:1]
	v_fma_f64 v[22:23], v[118:119], s[30:31], v[82:83]
	v_add_f64 v[16:17], v[16:17], v[50:51]
	v_fma_f64 v[50:51], v[110:111], s[16:17], -v[80:81]
	v_fma_f64 v[82:83], v[118:119], s[46:47], v[82:83]
	v_add_f64 v[10:11], v[20:21], v[10:11]
	v_fma_f64 v[80:81], v[110:111], s[16:17], v[80:81]
	v_fma_f64 v[20:21], v[110:111], s[28:29], -v[84:85]
	v_fma_f64 v[84:85], v[110:111], s[28:29], v[84:85]
	v_fma_f64 v[110:111], v[128:129], s[26:27], v[96:97]
	;; [unrolled: 1-line block ×3, first 2 shown]
	v_add_f64 v[0:1], v[26:27], v[0:1]
	v_add_f64 v[12:13], v[22:23], v[12:13]
	v_fma_f64 v[26:27], v[112:113], s[50:51], v[90:91]
	v_mul_f64 v[22:23], v[132:133], s[54:55]
	v_add_f64 v[14:15], v[82:83], v[14:15]
	v_fma_f64 v[82:83], v[106:107], s[28:29], -v[88:89]
	v_add_f64 v[10:11], v[80:81], v[10:11]
	v_fma_f64 v[80:81], v[106:107], s[16:17], -v[92:93]
	v_fma_f64 v[92:93], v[106:107], s[16:17], v[92:93]
	v_fma_f64 v[88:89], v[106:107], s[28:29], v[88:89]
	v_add_f64 v[18:19], v[50:51], v[18:19]
	v_add_f64 v[20:21], v[20:21], v[40:41]
	v_fma_f64 v[40:41], v[112:113], s[30:31], v[86:87]
	v_add_f64 v[16:17], v[84:85], v[16:17]
	v_mul_f64 v[84:85], v[136:137], s[18:19]
	v_mul_f64 v[50:51], v[136:137], s[22:23]
	v_fma_f64 v[90:91], v[112:113], s[6:7], v[90:91]
	v_fma_f64 v[86:87], v[112:113], s[46:47], v[86:87]
	v_fma_f64 v[112:113], v[124:125], s[24:25], -v[98:99]
	v_fma_f64 v[98:99], v[124:125], s[24:25], v[98:99]
	v_add_f64 v[106:107], v[26:27], v[12:13]
	v_add_f64 v[12:13], v[158:159], v[52:53]
	buffer_load_dword v52, off, s[60:63], 0 ; 4-byte Folded Reload
	v_fma_f64 v[102:103], v[124:125], s[22:23], v[22:23]
	v_fma_f64 v[22:23], v[124:125], s[22:23], -v[22:23]
	v_add_f64 v[26:27], v[178:179], v[24:25]
	v_add_f64 v[24:25], v[160:161], v[54:55]
	v_add_f64 v[88:89], v[88:89], v[10:11]
	v_add_f64 v[82:83], v[82:83], v[18:19]
	v_add_f64 v[80:81], v[80:81], v[20:21]
	v_add_f64 v[40:41], v[40:41], v[2:3]
	v_add_f64 v[92:93], v[92:93], v[16:17]
	v_fma_f64 v[104:105], v[128:129], s[44:45], v[84:85]
	v_fma_f64 v[100:101], v[128:129], s[20:21], v[50:51]
	;; [unrolled: 1-line block ×3, first 2 shown]
	v_add_f64 v[90:91], v[90:91], v[14:15]
	v_fma_f64 v[84:85], v[128:129], s[10:11], v[84:85]
	v_add_f64 v[86:87], v[86:87], v[0:1]
	v_add_f64 v[14:15], v[156:157], v[48:49]
	;; [unrolled: 1-line block ×6, first 2 shown]
	v_mov_b32_e32 v53, 4
	v_add_f64 v[0:1], v[102:103], v[8:9]
	v_add_f64 v[8:9], v[22:23], v[38:39]
	;; [unrolled: 1-line block ×14, first 2 shown]
	s_waitcnt vmcnt(0)
	v_mul_lo_u16 v52, v52, 17
	v_lshlrev_b32_sdwa v52, v53, v52 dst_sel:DWORD dst_unused:UNUSED_PAD src0_sel:DWORD src1_sel:WORD_0
	ds_write_b128 v52, v[4:7]
	ds_write_b128 v52, v[12:15] offset:16
	ds_write_b128 v52, v[16:19] offset:32
	;; [unrolled: 1-line block ×16, first 2 shown]
.LBB0_7:
	s_or_b32 exec_lo, exec_lo, s33
	buffer_load_dword v18, off, s[60:63], 0 ; 4-byte Folded Reload
	v_mov_b32_e32 v5, 0xf0f1
	s_load_dwordx4 s[4:7], s[0:1], 0x0
	s_waitcnt vmcnt(0) lgkmcnt(0)
	s_waitcnt_vscnt null, 0x0
	s_barrier
	buffer_gl0_inv
	s_mov_b32 s9, 0xbfebb67a
	v_add_co_u32 v188, null, 0xaa, v18
	v_and_b32_e32 v10, 0xff, v18
	v_add_co_u32 v2, null, 0x154, v18
	v_mul_u32_u24_sdwa v4, v188, v5 dst_sel:DWORD dst_unused:UNUSED_PAD src0_sel:WORD_0 src1_sel:DWORD
	v_mul_lo_u16 v0, 0xf1, v10
	v_mul_u32_u24_sdwa v11, v2, v5 dst_sel:DWORD dst_unused:UNUSED_PAD src0_sel:WORD_0 src1_sel:DWORD
	v_lshrrev_b32_e32 v1, 20, v4
	v_lshrrev_b16 v3, 12, v0
	v_lshrrev_b32_e32 v6, 20, v11
	v_lshrrev_b32_e32 v11, 22, v11
	v_mul_lo_u16 v0, v1, 17
	v_mul_lo_u16 v7, v3, 17
	;; [unrolled: 1-line block ×3, first 2 shown]
	v_sub_nc_u16 v40, v188, v0
	v_sub_nc_u16 v0, v18, v7
	;; [unrolled: 1-line block ×3, first 2 shown]
	v_mul_lo_u16 v9, v40, 48
	v_mad_u16 v1, 0x44, v1, v40
	v_and_b32_e32 v7, 0xff, v0
	v_mul_lo_u16 v12, v41, 48
	v_mad_u16 v6, 0x44, v6, v41
	v_and_b32_e32 v0, 0xffff, v9
	v_mad_u64_u32 v[8:9], null, v7, 48, s[2:3]
	v_add_co_u32 v28, s0, s2, v0
	v_add_co_ci_u32_e64 v29, null, s3, 0, s0
	s_clause 0x3
	global_load_dwordx4 v[146:149], v[8:9], off
	global_load_dwordx4 v[36:39], v[8:9], off offset:16
	global_load_dwordx4 v[23:26], v[8:9], off offset:32
	global_load_dwordx4 v[19:22], v[28:29], off
	v_and_b32_e32 v0, 0xffff, v12
	v_add_co_u32 v8, null, 0x1fe, v18
	v_mul_lo_u16 v9, 0x79, v10
	v_lshrrev_b32_e32 v10, 22, v4
	v_add_co_u32 v30, s0, s2, v0
	v_mov_b32_e32 v0, 4
	v_add_co_ci_u32_e64 v31, null, s3, 0, s0
	s_clause 0x4
	global_load_dwordx4 v[32:35], v[28:29], off offset:16
	global_load_dwordx4 v[12:15], v[28:29], off offset:32
	global_load_dwordx4 v[154:157], v[30:31], off
	global_load_dwordx4 v[150:153], v[30:31], off offset:16
	global_load_dwordx4 v[27:30], v[30:31], off offset:32
	v_lshlrev_b32_sdwa v240, v0, v18 dst_sel:DWORD dst_unused:UNUSED_PAD src0_sel:DWORD src1_sel:WORD_0
	ds_read_b128 v[48:51], v240 offset:8160
	ds_read_b128 v[52:55], v240 offset:16320
	;; [unrolled: 1-line block ×10, first 2 shown]
	ds_read_b128 v[104:107], v240
	ds_read_b128 v[108:111], v240 offset:2720
	v_mov_b32_e32 v4, 0x44
	v_mul_u32_u24_sdwa v5, v8, v5 dst_sel:DWORD dst_unused:UNUSED_PAD src0_sel:WORD_0 src1_sel:DWORD
	v_lshrrev_b16 v9, 13, v9
	v_mul_u32_u24_sdwa v3, v3, v4 dst_sel:DWORD dst_unused:UNUSED_PAD src0_sel:WORD_0 src1_sel:DWORD
	v_mul_lo_u16 v4, 0x44, v11
	s_waitcnt vmcnt(8) lgkmcnt(11)
	v_mul_f64 v[42:43], v[50:51], v[148:149]
	v_mul_f64 v[112:113], v[48:49], v[148:149]
	s_waitcnt vmcnt(7) lgkmcnt(10)
	v_mul_f64 v[114:115], v[54:55], v[38:39]
	v_mul_f64 v[116:117], v[52:53], v[38:39]
	;; [unrolled: 3-line block ×9, first 2 shown]
	v_fma_f64 v[42:43], v[48:49], v[146:147], -v[42:43]
	buffer_store_dword v146, off, s[60:63], 0 offset:156 ; 4-byte Folded Spill
	buffer_store_dword v147, off, s[60:63], 0 offset:160 ; 4-byte Folded Spill
	;; [unrolled: 1-line block ×4, first 2 shown]
	v_fma_f64 v[48:49], v[50:51], v[146:147], v[112:113]
	v_fma_f64 v[50:51], v[52:53], v[36:37], -v[114:115]
	buffer_store_dword v36, off, s[60:63], 0 offset:140 ; 4-byte Folded Spill
	buffer_store_dword v37, off, s[60:63], 0 offset:144 ; 4-byte Folded Spill
	;; [unrolled: 1-line block ×4, first 2 shown]
	v_fma_f64 v[52:53], v[54:55], v[36:37], v[116:117]
	v_fma_f64 v[54:55], v[56:57], v[23:24], -v[118:119]
	buffer_store_dword v23, off, s[60:63], 0 offset:108 ; 4-byte Folded Spill
	buffer_store_dword v24, off, s[60:63], 0 offset:112 ; 4-byte Folded Spill
	;; [unrolled: 1-line block ×4, first 2 shown]
	s_waitcnt lgkmcnt(1)
	v_add_f64 v[112:113], v[106:107], -v[52:53]
	v_fma_f64 v[56:57], v[58:59], v[23:24], v[120:121]
	v_fma_f64 v[58:59], v[76:77], v[19:20], -v[122:123]
	buffer_store_dword v19, off, s[60:63], 0 offset:92 ; 4-byte Folded Spill
	buffer_store_dword v20, off, s[60:63], 0 offset:96 ; 4-byte Folded Spill
	;; [unrolled: 1-line block ×4, first 2 shown]
	v_add_lshl_u32 v21, v3, v7, 4
	v_add_f64 v[52:53], v[48:49], -v[56:57]
	v_fma_f64 v[76:77], v[78:79], v[19:20], v[124:125]
	v_fma_f64 v[78:79], v[80:81], v[32:33], -v[126:127]
	buffer_store_dword v32, off, s[60:63], 0 offset:124 ; 4-byte Folded Spill
	buffer_store_dword v33, off, s[60:63], 0 offset:128 ; 4-byte Folded Spill
	;; [unrolled: 1-line block ×4, first 2 shown]
	v_lshlrev_b32_sdwa v20, v0, v1 dst_sel:DWORD dst_unused:UNUSED_PAD src0_sel:DWORD src1_sel:WORD_0
	v_lshlrev_b32_sdwa v19, v0, v6 dst_sel:DWORD dst_unused:UNUSED_PAD src0_sel:DWORD src1_sel:WORD_0
	s_waitcnt lgkmcnt(0)
	v_add_f64 v[114:115], v[108:109], -v[78:79]
	v_fma_f64 v[80:81], v[82:83], v[32:33], v[128:129]
	v_fma_f64 v[82:83], v[84:85], v[12:13], -v[130:131]
	buffer_store_dword v12, off, s[60:63], 0 offset:76 ; 4-byte Folded Spill
	buffer_store_dword v13, off, s[60:63], 0 offset:80 ; 4-byte Folded Spill
	;; [unrolled: 1-line block ×4, first 2 shown]
	v_sub_nc_u16 v15, v2, v4
	v_lshlrev_b16 v16, 5, v15
	v_and_b32_e32 v16, 0xffff, v16
	v_add_f64 v[116:117], v[110:111], -v[80:81]
	v_fma_f64 v[84:85], v[86:87], v[12:13], v[132:133]
	v_fma_f64 v[86:87], v[88:89], v[154:155], -v[134:135]
	buffer_store_dword v154, off, s[60:63], 0 offset:204 ; 4-byte Folded Spill
	buffer_store_dword v155, off, s[60:63], 0 offset:208 ; 4-byte Folded Spill
	;; [unrolled: 1-line block ×4, first 2 shown]
	v_lshrrev_b32_e32 v12, 22, v5
	v_mul_lo_u16 v5, 0x44, v9
	v_mul_lo_u16 v13, 0x44, v10
	;; [unrolled: 1-line block ×3, first 2 shown]
	v_sub_nc_u16 v5, v18, v5
	v_sub_nc_u16 v13, v188, v13
	;; [unrolled: 1-line block ×3, first 2 shown]
	v_and_b32_e32 v14, 0xff, v5
	v_lshlrev_b16 v5, 5, v13
	v_lshlrev_b16 v17, 5, v8
	v_lshlrev_b32_e32 v7, 5, v14
	v_and_b32_e32 v5, 0xffff, v5
	v_add_f64 v[56:57], v[76:77], -v[84:85]
	v_and_b32_e32 v17, 0xffff, v17
	v_add_co_u32 v5, s0, s2, v5
	v_add_co_ci_u32_e64 v6, null, s3, 0, s0
	v_fma_f64 v[88:89], v[90:91], v[154:155], v[136:137]
	v_fma_f64 v[90:91], v[92:93], v[150:151], -v[138:139]
	buffer_store_dword v150, off, s[60:63], 0 offset:188 ; 4-byte Folded Spill
	buffer_store_dword v151, off, s[60:63], 0 offset:192 ; 4-byte Folded Spill
	;; [unrolled: 1-line block ×4, first 2 shown]
	v_add_f64 v[118:119], v[100:101], -v[90:91]
	v_fma_f64 v[100:101], v[100:101], 2.0, -v[118:119]
	v_fma_f64 v[92:93], v[94:95], v[150:151], v[140:141]
	v_fma_f64 v[94:95], v[96:97], v[27:28], -v[142:143]
	buffer_store_dword v27, off, s[60:63], 0 offset:172 ; 4-byte Folded Spill
	buffer_store_dword v28, off, s[60:63], 0 offset:176 ; 4-byte Folded Spill
	;; [unrolled: 1-line block ×4, first 2 shown]
	s_waitcnt_vscnt null, 0x0
	s_barrier
	buffer_gl0_inv
	v_add_f64 v[120:121], v[102:103], -v[92:93]
	v_add_f64 v[78:79], v[86:87], -v[94:95]
	v_fma_f64 v[92:93], v[106:107], 2.0, -v[112:113]
	v_fma_f64 v[94:95], v[108:109], 2.0, -v[114:115]
	;; [unrolled: 1-line block ×4, first 2 shown]
	v_add_f64 v[78:79], v[120:121], v[78:79]
	v_fma_f64 v[96:97], v[98:99], v[27:28], v[144:145]
	v_add_f64 v[98:99], v[104:105], -v[50:51]
	v_add_f64 v[50:51], v[42:43], -v[54:55]
	;; [unrolled: 1-line block ×3, first 2 shown]
	v_fma_f64 v[82:83], v[48:49], 2.0, -v[52:53]
	v_add_f64 v[80:81], v[88:89], -v[96:97]
	v_fma_f64 v[90:91], v[104:105], 2.0, -v[98:99]
	v_fma_f64 v[42:43], v[42:43], 2.0, -v[50:51]
	v_fma_f64 v[104:105], v[110:111], 2.0, -v[116:117]
	v_fma_f64 v[84:85], v[58:59], 2.0, -v[54:55]
	v_fma_f64 v[96:97], v[76:77], 2.0, -v[56:57]
	v_add_f64 v[48:49], v[98:99], -v[52:53]
	v_add_f64 v[50:51], v[112:113], v[50:51]
	v_add_f64 v[52:53], v[114:115], -v[56:57]
	v_add_f64 v[58:59], v[92:93], -v[82:83]
	v_add_f64 v[54:55], v[116:117], v[54:55]
	v_fma_f64 v[88:89], v[88:89], 2.0, -v[80:81]
	v_add_f64 v[76:77], v[118:119], -v[80:81]
	v_add_f64 v[56:57], v[90:91], -v[42:43]
	;; [unrolled: 1-line block ×5, first 2 shown]
	v_fma_f64 v[1:2], v[98:99], 2.0, -v[48:49]
	v_fma_f64 v[3:4], v[112:113], 2.0, -v[50:51]
	;; [unrolled: 1-line block ×4, first 2 shown]
	ds_write_b128 v21, v[48:51] offset:816
	ds_write_b128 v21, v[1:4] offset:272
	ds_write_b128 v21, v[56:59] offset:544
	v_add_f64 v[86:87], v[102:103], -v[88:89]
	v_fma_f64 v[88:89], v[90:91], 2.0, -v[56:57]
	v_fma_f64 v[90:91], v[92:93], 2.0, -v[58:59]
	;; [unrolled: 1-line block ×7, first 2 shown]
	v_add_co_u32 v1, s0, s2, v16
	v_add_co_ci_u32_e64 v2, null, s3, 0, s0
	v_add_co_u32 v3, s0, s2, v17
	v_add_co_ci_u32_e64 v4, null, s3, 0, s0
	buffer_store_dword v21, off, s[60:63], 0 offset:332 ; 4-byte Folded Spill
	ds_write_b128 v21, v[88:91]
	ds_write_b128 v20, v[40:43] offset:272
	ds_write_b128 v20, v[80:83] offset:544
	ds_write_b128 v20, v[52:55] offset:816
	v_fma_f64 v[102:103], v[102:103], 2.0, -v[86:87]
	buffer_store_dword v20, off, s[60:63], 0 offset:324 ; 4-byte Folded Spill
	ds_write_b128 v20, v[96:99]
	ds_write_b128 v19, v[100:103]
	ds_write_b128 v19, v[92:95] offset:272
	ds_write_b128 v19, v[84:87] offset:544
	buffer_store_dword v19, off, s[60:63], 0 offset:316 ; 4-byte Folded Spill
	ds_write_b128 v19, v[76:79] offset:816
	s_waitcnt lgkmcnt(0)
	s_waitcnt_vscnt null, 0x0
	s_barrier
	buffer_gl0_inv
	s_clause 0x7
	global_load_dwordx4 v[19:22], v7, s[2:3] offset:832
	global_load_dwordx4 v[92:95], v7, s[2:3] offset:816
	global_load_dwordx4 v[23:26], v[5:6], off offset:832
	global_load_dwordx4 v[96:99], v[5:6], off offset:816
	;; [unrolled: 1-line block ×6, first 2 shown]
	ds_read_b128 v[1:4], v240 offset:10880
	ds_read_b128 v[40:43], v240 offset:21760
	ds_read_b128 v[48:51], v240 offset:13600
	ds_read_b128 v[52:55], v240 offset:24480
	ds_read_b128 v[56:59], v240 offset:16320
	ds_read_b128 v[108:111], v240 offset:27200
	ds_read_b128 v[112:115], v240 offset:19040
	ds_read_b128 v[116:119], v240 offset:29920
	s_mov_b32 s0, 0xe8584caa
	s_mov_b32 s1, 0x3febb67a
	;; [unrolled: 1-line block ×3, first 2 shown]
	v_mov_b32_e32 v7, 0xcc
	v_mul_u32_u24_sdwa v7, v9, v7 dst_sel:DWORD dst_unused:UNUSED_PAD src0_sel:WORD_0 src1_sel:DWORD
	v_mad_u16 v9, 0xcc, v10, v13
	s_waitcnt vmcnt(3) lgkmcnt(3)
	v_mul_f64 v[134:135], v[58:59], v[90:91]
	v_mul_f64 v[122:123], v[42:43], v[21:22]
	;; [unrolled: 1-line block ×3, first 2 shown]
	s_waitcnt vmcnt(2) lgkmcnt(2)
	v_mul_f64 v[138:139], v[110:111], v[29:30]
	v_mul_f64 v[124:125], v[40:41], v[21:22]
	;; [unrolled: 1-line block ×9, first 2 shown]
	s_waitcnt vmcnt(1) lgkmcnt(1)
	v_mul_f64 v[142:143], v[114:115], v[106:107]
	s_waitcnt vmcnt(0) lgkmcnt(0)
	v_mul_f64 v[144:145], v[118:119], v[102:103]
	v_mul_f64 v[146:147], v[112:113], v[106:107]
	;; [unrolled: 1-line block ×3, first 2 shown]
	v_fma_f64 v[56:57], v[56:57], v[88:89], -v[134:135]
	v_fma_f64 v[122:123], v[40:41], v[19:20], -v[122:123]
	buffer_store_dword v19, off, s[60:63], 0 offset:236 ; 4-byte Folded Spill
	buffer_store_dword v20, off, s[60:63], 0 offset:240 ; 4-byte Folded Spill
	buffer_store_dword v21, off, s[60:63], 0 offset:244 ; 4-byte Folded Spill
	buffer_store_dword v22, off, s[60:63], 0 offset:248 ; 4-byte Folded Spill
	v_fma_f64 v[130:131], v[52:53], v[23:24], -v[130:131]
	buffer_store_dword v23, off, s[60:63], 0 offset:252 ; 4-byte Folded Spill
	buffer_store_dword v24, off, s[60:63], 0 offset:256 ; 4-byte Folded Spill
	buffer_store_dword v25, off, s[60:63], 0 offset:260 ; 4-byte Folded Spill
	buffer_store_dword v26, off, s[60:63], 0 offset:264 ; 4-byte Folded Spill
	;; [unrolled: 5-line block ×3, first 2 shown]
	v_fma_f64 v[5:6], v[1:2], v[92:93], -v[5:6]
	v_fma_f64 v[120:121], v[3:4], v[92:93], v[120:121]
	v_fma_f64 v[126:127], v[48:49], v[96:97], -v[126:127]
	v_fma_f64 v[128:129], v[50:51], v[96:97], v[128:129]
	v_fma_f64 v[58:59], v[58:59], v[88:89], v[136:137]
	v_fma_f64 v[112:113], v[112:113], v[104:105], -v[142:143]
	v_fma_f64 v[116:117], v[116:117], v[100:101], -v[144:145]
	v_fma_f64 v[114:115], v[114:115], v[104:105], v[146:147]
	v_fma_f64 v[118:119], v[118:119], v[100:101], v[148:149]
	ds_read_b128 v[1:4], v240
	v_add_f64 v[142:143], v[56:57], v[108:109]
	v_add_f64 v[134:135], v[5:6], v[122:123]
	;; [unrolled: 1-line block ×4, first 2 shown]
	v_add_f64 v[168:169], v[112:113], -v[116:117]
	v_add_f64 v[152:153], v[114:115], v[118:119]
	v_add_f64 v[166:167], v[114:115], -v[118:119]
	v_fma_f64 v[124:125], v[42:43], v[19:20], v[124:125]
	ds_read_b128 v[40:43], v240 offset:2720
	v_fma_f64 v[132:133], v[54:55], v[23:24], v[132:133]
	s_waitcnt lgkmcnt(1)
	v_add_f64 v[144:145], v[1:2], v[5:6]
	v_fma_f64 v[110:111], v[110:111], v[27:28], v[140:141]
	ds_read_b128 v[48:51], v240 offset:5440
	ds_read_b128 v[52:55], v240 offset:8160
	v_add_f64 v[5:6], v[5:6], -v[122:123]
	v_fma_f64 v[134:135], v[134:135], -0.5, v[1:2]
	s_waitcnt lgkmcnt(0)
	s_waitcnt_vscnt null, 0x0
	s_barrier
	buffer_gl0_inv
	v_add_f64 v[154:155], v[40:41], v[126:127]
	v_add_f64 v[136:137], v[120:121], v[124:125]
	v_add_f64 v[148:149], v[120:121], -v[124:125]
	v_add_f64 v[140:141], v[128:129], v[132:133]
	v_add_f64 v[120:121], v[3:4], v[120:121]
	;; [unrolled: 1-line block ×8, first 2 shown]
	v_add_f64 v[128:129], v[128:129], -v[132:133]
	v_add_f64 v[126:127], v[126:127], -v[130:131]
	v_fma_f64 v[138:139], v[138:139], -0.5, v[40:41]
	v_add_f64 v[58:59], v[58:59], -v[110:111]
	v_add_f64 v[56:57], v[56:57], -v[108:109]
	v_fma_f64 v[142:143], v[142:143], -0.5, v[48:49]
	v_fma_f64 v[150:151], v[150:151], -0.5, v[52:53]
	v_add_f64 v[1:2], v[144:145], v[122:123]
	v_fma_f64 v[144:145], v[152:153], -0.5, v[54:55]
                                        ; implicit-def: $vgpr152_vgpr153
	v_add_f64 v[40:41], v[154:155], v[130:131]
	v_fma_f64 v[136:137], v[136:137], -0.5, v[3:4]
	v_fma_f64 v[112:113], v[148:149], s[8:9], v[134:135]
	v_fma_f64 v[140:141], v[140:141], -0.5, v[42:43]
	v_add_f64 v[3:4], v[120:121], v[124:125]
	v_fma_f64 v[146:147], v[146:147], -0.5, v[50:51]
	v_add_f64 v[42:43], v[156:157], v[132:133]
	v_add_f64 v[48:49], v[158:159], v[108:109]
	;; [unrolled: 1-line block ×5, first 2 shown]
	v_fma_f64 v[108:109], v[148:149], s[0:1], v[134:135]
                                        ; implicit-def: $vgpr148_vgpr149
                                        ; implicit-def: $vgpr156_vgpr157
	v_fma_f64 v[116:117], v[128:129], s[0:1], v[138:139]
	v_fma_f64 v[120:121], v[128:129], s[8:9], v[138:139]
	;; [unrolled: 1-line block ×14, first 2 shown]
	v_mad_u16 v5, 0xcc, v11, v15
	v_mad_u16 v6, 0xcc, v12, v8
	v_add_lshl_u32 v8, v7, v14, 4
	v_lshlrev_b32_sdwa v7, v0, v9 dst_sel:DWORD dst_unused:UNUSED_PAD src0_sel:DWORD src1_sel:WORD_0
	ds_write_b128 v8, v[1:4]
	ds_write_b128 v8, v[108:111] offset:1088
	v_lshlrev_b32_sdwa v5, v0, v5 dst_sel:DWORD dst_unused:UNUSED_PAD src0_sel:DWORD src1_sel:WORD_0
	v_lshlrev_b32_sdwa v0, v0, v6 dst_sel:DWORD dst_unused:UNUSED_PAD src0_sel:DWORD src1_sel:WORD_0
	buffer_store_dword v8, off, s[60:63], 0 offset:308 ; 4-byte Folded Spill
	ds_write_b128 v8, v[112:115] offset:2176
	ds_write_b128 v7, v[40:43]
	ds_write_b128 v7, v[116:119] offset:1088
	buffer_store_dword v7, off, s[60:63], 0 offset:300 ; 4-byte Folded Spill
	ds_write_b128 v7, v[120:123] offset:2176
	ds_write_b128 v5, v[48:51]
	ds_write_b128 v5, v[124:127] offset:1088
	;; [unrolled: 4-line block ×3, first 2 shown]
	buffer_store_dword v0, off, s[60:63], 0 offset:284 ; 4-byte Folded Spill
	ds_write_b128 v0, v[56:59] offset:2176
	s_waitcnt lgkmcnt(0)
	s_waitcnt_vscnt null, 0x0
	s_barrier
	buffer_gl0_inv
	ds_read_b128 v[144:147], v240
	ds_read_b128 v[180:183], v240 offset:3264
	ds_read_b128 v[176:179], v240 offset:6528
	;; [unrolled: 1-line block ×9, first 2 shown]
	v_cmp_gt_u16_e64 s0, 34, v18
	s_and_saveexec_b32 s1, s0
	s_cbranch_execz .LBB0_9
; %bb.8:
	ds_read_b128 v[140:143], v240 offset:2720
	ds_read_b128 v[56:59], v240 offset:5984
	;; [unrolled: 1-line block ×10, first 2 shown]
.LBB0_9:
	s_or_b32 exec_lo, exec_lo, s1
	buffer_load_dword v8, off, s[60:63], 0  ; 4-byte Folded Reload
	s_mov_b32 s16, 0x134454ff
	s_mov_b32 s17, 0x3fee6f0e
	;; [unrolled: 1-line block ×9, first 2 shown]
	s_waitcnt vmcnt(0)
	v_mad_u64_u32 v[4:5], null, 0x90, v8, s[2:3]
	v_subrev_nc_u32_e32 v8, 34, v8
	v_cndmask_b32_e64 v8, v8, v188, s0
	v_add_co_u32 v6, s1, 0x800, v4
	v_add_co_ci_u32_e64 v7, s1, 0, v5, s1
	v_add_co_u32 v116, s1, 0xbb0, v4
	v_add_co_ci_u32_e64 v117, s1, 0, v5, s1
	global_load_dwordx4 v[9:12], v[6:7], off offset:944
	v_add_co_u32 v4, s1, 0xbf0, v4
	v_add_co_ci_u32_e64 v5, s1, 0, v5, s1
	s_clause 0x7
	global_load_dwordx4 v[108:111], v[116:117], off offset:16
	global_load_dwordx4 v[13:16], v[116:117], off offset:32
	;; [unrolled: 1-line block ×8, first 2 shown]
	s_waitcnt vmcnt(8) lgkmcnt(8)
	v_mul_f64 v[4:5], v[182:183], v[11:12]
	v_mul_f64 v[6:7], v[180:181], v[11:12]
	v_fma_f64 v[4:5], v[180:181], v[9:10], -v[4:5]
	buffer_store_dword v9, off, s[60:63], 0 offset:220 ; 4-byte Folded Spill
	buffer_store_dword v10, off, s[60:63], 0 offset:224 ; 4-byte Folded Spill
	;; [unrolled: 1-line block ×4, first 2 shown]
	s_waitcnt vmcnt(7) lgkmcnt(7)
	v_mul_f64 v[180:181], v[178:179], v[110:111]
	v_fma_f64 v[184:185], v[176:177], v[108:109], -v[180:181]
	s_waitcnt vmcnt(6) lgkmcnt(6)
	v_mul_f64 v[180:181], v[172:173], v[15:16]
	v_fma_f64 v[6:7], v[182:183], v[9:10], v[6:7]
	v_mul_f64 v[182:183], v[176:177], v[110:111]
	v_mul_i32_i24_e32 v9, 0x90, v8
	v_mul_hi_i32_i24_e32 v8, 0x90, v8
	v_add_co_u32 v9, s1, s2, v9
	v_add_co_ci_u32_e64 v8, s1, s3, v8, s1
	s_mov_b32 s2, 0x4755a5e
	s_mov_b32 s3, 0x3fe2cf23
	;; [unrolled: 1-line block ×3, first 2 shown]
	v_fma_f64 v[176:177], v[178:179], v[108:109], v[182:183]
	v_mul_f64 v[178:179], v[174:175], v[15:16]
	v_fma_f64 v[178:179], v[172:173], v[13:14], -v[178:179]
	buffer_store_dword v13, off, s[60:63], 0 offset:356 ; 4-byte Folded Spill
	buffer_store_dword v14, off, s[60:63], 0 offset:360 ; 4-byte Folded Spill
	;; [unrolled: 1-line block ×4, first 2 shown]
	v_fma_f64 v[172:173], v[174:175], v[13:14], v[180:181]
	s_waitcnt vmcnt(5) lgkmcnt(5)
	v_mul_f64 v[174:175], v[170:171], v[19:20]
	v_mul_f64 v[180:181], v[168:169], v[19:20]
	v_fma_f64 v[174:175], v[168:169], v[17:18], -v[174:175]
	buffer_store_dword v17, off, s[60:63], 0 offset:340 ; 4-byte Folded Spill
	buffer_store_dword v18, off, s[60:63], 0 offset:344 ; 4-byte Folded Spill
	;; [unrolled: 1-line block ×4, first 2 shown]
	v_fma_f64 v[168:169], v[170:171], v[17:18], v[180:181]
	s_waitcnt vmcnt(4) lgkmcnt(4)
	v_mul_f64 v[170:171], v[166:167], v[122:123]
	v_mul_f64 v[180:181], v[164:165], v[122:123]
	v_fma_f64 v[170:171], v[164:165], v[120:121], -v[170:171]
	v_fma_f64 v[164:165], v[166:167], v[120:121], v[180:181]
	s_waitcnt vmcnt(3) lgkmcnt(3)
	v_mul_f64 v[166:167], v[162:163], v[126:127]
	v_mul_f64 v[180:181], v[160:161], v[126:127]
	v_fma_f64 v[186:187], v[160:161], v[124:125], -v[166:167]
	s_waitcnt vmcnt(2) lgkmcnt(2)
	v_mul_f64 v[160:161], v[42:43], v[130:131]
	v_fma_f64 v[166:167], v[162:163], v[124:125], v[180:181]
	v_mul_f64 v[162:163], v[40:41], v[130:131]
	v_add_f64 v[251:252], v[174:175], -v[186:187]
	v_fma_f64 v[190:191], v[40:41], v[128:129], -v[160:161]
	v_add_co_u32 v160, s1, 0xbb0, v9
	v_add_co_ci_u32_e64 v161, s1, 0, v8, s1
	v_fma_f64 v[188:189], v[42:43], v[128:129], v[162:163]
	v_add_co_u32 v162, s1, 0x800, v9
	v_add_co_ci_u32_e64 v163, s1, 0, v8, s1
	s_clause 0x2
	global_load_dwordx4 v[14:17], v[160:161], off offset:16
	global_load_dwordx4 v[10:13], v[162:163], off offset:944
	;; [unrolled: 1-line block ×3, first 2 shown]
	s_waitcnt vmcnt(4) lgkmcnt(1)
	v_mul_f64 v[40:41], v[54:55], v[134:135]
	v_add_f64 v[247:248], v[168:169], -v[166:167]
	v_add_f64 v[230:231], v[170:171], -v[190:191]
	;; [unrolled: 1-line block ×3, first 2 shown]
	v_fma_f64 v[204:205], v[52:53], v[132:133], -v[40:41]
	v_mul_f64 v[40:41], v[52:53], v[134:135]
	v_add_f64 v[249:250], v[184:185], -v[204:205]
	v_fma_f64 v[206:207], v[54:55], v[132:133], v[40:41]
	s_waitcnt vmcnt(3) lgkmcnt(0)
	v_mul_f64 v[40:41], v[2:3], v[138:139]
	v_add_f64 v[200:201], v[206:207], -v[166:167]
	v_fma_f64 v[194:195], v[0:1], v[136:137], -v[40:41]
	v_mul_f64 v[0:1], v[0:1], v[138:139]
	v_add_f64 v[245:246], v[176:177], -v[206:207]
	v_add_f64 v[202:203], v[194:195], -v[190:191]
	v_fma_f64 v[192:193], v[2:3], v[136:137], v[0:1]
	v_add_f64 v[228:229], v[178:179], -v[194:195]
	v_add_f64 v[236:237], v[172:173], -v[192:193]
	s_waitcnt vmcnt(2)
	v_mul_f64 v[40:41], v[46:47], v[16:17]
	v_mul_f64 v[42:43], v[44:45], v[16:17]
	s_waitcnt vmcnt(1)
	v_mul_f64 v[0:1], v[58:59], v[12:13]
	v_mul_f64 v[2:3], v[56:57], v[12:13]
	v_fma_f64 v[40:41], v[44:45], v[14:15], -v[40:41]
	v_fma_f64 v[0:1], v[56:57], v[10:11], -v[0:1]
	buffer_store_dword v10, off, s[60:63], 0 offset:376 ; 4-byte Folded Spill
	buffer_store_dword v11, off, s[60:63], 0 offset:380 ; 4-byte Folded Spill
	;; [unrolled: 1-line block ×8, first 2 shown]
	s_waitcnt vmcnt(0)
	v_mul_f64 v[56:57], v[62:63], v[20:21]
	v_fma_f64 v[2:3], v[58:59], v[10:11], v[2:3]
	v_fma_f64 v[42:43], v[46:47], v[14:15], v[42:43]
	s_clause 0x1
	global_load_dwordx4 v[14:17], v[160:161], off offset:32
	global_load_dwordx4 v[10:13], v[160:161], off offset:48
	v_fma_f64 v[58:59], v[60:61], v[18:19], -v[56:57]
	v_mul_f64 v[56:57], v[60:61], v[20:21]
	s_waitcnt vmcnt(1)
	v_mul_f64 v[44:45], v[74:75], v[16:17]
	s_waitcnt vmcnt(0)
	v_mul_f64 v[52:53], v[70:71], v[12:13]
	v_mul_f64 v[54:55], v[68:69], v[12:13]
	v_fma_f64 v[46:47], v[72:73], v[14:15], -v[44:45]
	v_mul_f64 v[44:45], v[72:73], v[16:17]
	buffer_store_dword v14, off, s[60:63], 0 offset:440 ; 4-byte Folded Spill
	buffer_store_dword v15, off, s[60:63], 0 offset:444 ; 4-byte Folded Spill
	;; [unrolled: 1-line block ×4, first 2 shown]
	v_fma_f64 v[52:53], v[68:69], v[10:11], -v[52:53]
	buffer_store_dword v10, off, s[60:63], 0 offset:408 ; 4-byte Folded Spill
	buffer_store_dword v11, off, s[60:63], 0 offset:412 ; 4-byte Folded Spill
	;; [unrolled: 1-line block ×4, first 2 shown]
	v_add_co_u32 v68, s1, 0xbf0, v9
	v_add_co_ci_u32_e64 v69, s1, 0, v8, s1
	buffer_store_dword v18, off, s[60:63], 0 offset:424 ; 4-byte Folded Spill
	buffer_store_dword v19, off, s[60:63], 0 offset:428 ; 4-byte Folded Spill
	;; [unrolled: 1-line block ×4, first 2 shown]
	v_fma_f64 v[44:45], v[74:75], v[14:15], v[44:45]
	v_fma_f64 v[54:55], v[70:71], v[10:11], v[54:55]
	s_clause 0x1
	global_load_dwordx4 v[12:15], v[162:163], off offset:1072
	global_load_dwordx4 v[8:11], v[68:69], off offset:16
	v_fma_f64 v[56:57], v[62:63], v[18:19], v[56:57]
	s_waitcnt vmcnt(0)
	v_mul_f64 v[60:61], v[66:67], v[10:11]
	v_mul_f64 v[62:63], v[64:65], v[10:11]
	v_fma_f64 v[60:61], v[64:65], v[8:9], -v[60:61]
	buffer_store_dword v8, off, s[60:63], 0 offset:456 ; 4-byte Folded Spill
	buffer_store_dword v9, off, s[60:63], 0 offset:460 ; 4-byte Folded Spill
	;; [unrolled: 1-line block ×4, first 2 shown]
	v_fma_f64 v[62:63], v[66:67], v[8:9], v[62:63]
	s_clause 0x1
	global_load_dwordx4 v[16:19], v[68:69], off offset:32
	global_load_dwordx4 v[8:11], v[68:69], off offset:48
	s_waitcnt vmcnt(1)
	v_mul_f64 v[64:65], v[150:151], v[18:19]
	s_waitcnt vmcnt(0)
	v_mul_f64 v[68:69], v[154:155], v[10:11]
	v_fma_f64 v[66:67], v[148:149], v[16:17], -v[64:65]
	v_mul_f64 v[64:65], v[148:149], v[18:19]
	buffer_store_dword v16, off, s[60:63], 0 offset:504 ; 4-byte Folded Spill
	buffer_store_dword v17, off, s[60:63], 0 offset:508 ; 4-byte Folded Spill
	;; [unrolled: 1-line block ×4, first 2 shown]
	v_fma_f64 v[72:73], v[152:153], v[8:9], -v[68:69]
	v_mul_f64 v[68:69], v[152:153], v[10:11]
	buffer_store_dword v8, off, s[60:63], 0 offset:472 ; 4-byte Folded Spill
	buffer_store_dword v9, off, s[60:63], 0 offset:476 ; 4-byte Folded Spill
	;; [unrolled: 1-line block ×4, first 2 shown]
	v_add_f64 v[148:149], v[174:175], v[186:187]
	v_add_f64 v[152:153], v[176:177], v[206:207]
	v_fma_f64 v[148:149], v[148:149], -0.5, v[144:145]
	v_fma_f64 v[64:65], v[150:151], v[16:17], v[64:65]
	v_add_f64 v[150:151], v[184:185], v[204:205]
	v_fma_f64 v[74:75], v[154:155], v[8:9], v[68:69]
	v_mul_f64 v[68:69], v[158:159], v[14:15]
	v_add_f64 v[154:155], v[6:7], v[172:173]
	v_fma_f64 v[70:71], v[156:157], v[12:13], -v[68:69]
	v_mul_f64 v[68:69], v[156:157], v[14:15]
	buffer_store_dword v12, off, s[60:63], 0 offset:488 ; 4-byte Folded Spill
	buffer_store_dword v13, off, s[60:63], 0 offset:492 ; 4-byte Folded Spill
	;; [unrolled: 1-line block ×4, first 2 shown]
	v_fma_f64 v[156:157], v[150:151], -0.5, v[144:145]
	v_add_f64 v[150:151], v[168:169], v[166:167]
	v_add_f64 v[144:145], v[144:145], v[184:185]
	;; [unrolled: 1-line block ×3, first 2 shown]
	v_fma_f64 v[150:151], v[150:151], -0.5, v[146:147]
	v_add_f64 v[144:145], v[144:145], v[174:175]
	v_add_f64 v[154:155], v[154:155], v[188:189]
	;; [unrolled: 1-line block ×5, first 2 shown]
	v_fma_f64 v[68:69], v[158:159], v[12:13], v[68:69]
	v_fma_f64 v[158:159], v[152:153], -0.5, v[146:147]
	v_add_f64 v[152:153], v[4:5], v[178:179]
	v_add_f64 v[146:147], v[146:147], v[176:177]
	;; [unrolled: 1-line block ×6, first 2 shown]
	v_add_f64 v[166:167], v[166:167], -v[206:207]
	v_add_f64 v[160:161], v[152:153], v[194:195]
	v_add_f64 v[146:147], v[146:147], v[206:207]
	;; [unrolled: 1-line block ×3, first 2 shown]
	v_add_f64 v[180:181], v[144:145], -v[160:161]
	v_add_f64 v[160:161], v[54:55], v[62:63]
	v_add_f64 v[154:155], v[146:147], v[162:163]
	v_add_f64 v[182:183], v[146:147], -v[162:163]
	v_add_f64 v[144:145], v[52:53], v[60:61]
	v_add_f64 v[146:147], v[40:41], v[72:73]
	;; [unrolled: 1-line block ×3, first 2 shown]
	v_fma_f64 v[241:242], v[160:161], -0.5, v[142:143]
	v_add_f64 v[160:161], v[42:43], v[74:75]
	v_fma_f64 v[144:145], v[144:145], -0.5, v[140:141]
	v_fma_f64 v[146:147], v[146:147], -0.5, v[140:141]
	v_add_f64 v[140:141], v[140:141], v[40:41]
	v_add_f64 v[162:163], v[162:163], v[56:57]
	v_fma_f64 v[243:244], v[160:161], -0.5, v[142:143]
	v_add_f64 v[142:143], v[142:143], v[42:43]
	v_add_f64 v[160:161], v[0:1], v[46:47]
	;; [unrolled: 1-line block ×15, first 2 shown]
	v_add_f64 v[160:161], v[140:141], -v[160:161]
	v_add_f64 v[162:163], v[142:143], -v[162:163]
	;; [unrolled: 1-line block ×7, first 2 shown]
	v_add_f64 v[140:141], v[140:141], v[142:143]
	v_add_f64 v[142:143], v[176:177], -v[168:169]
	v_add_f64 v[168:169], v[168:169], -v[176:177]
	v_add_f64 v[176:177], v[178:179], v[194:195]
	v_add_f64 v[142:143], v[142:143], v[200:201]
	v_add_f64 v[200:201], v[178:179], -v[170:171]
	v_add_f64 v[166:167], v[168:169], v[166:167]
	v_add_f64 v[216:217], v[200:201], v[202:203]
	v_add_f64 v[200:201], v[172:173], -v[164:165]
	v_add_f64 v[202:203], v[192:193], -v[188:189]
	v_add_f64 v[218:219], v[200:201], v[202:203]
	v_add_f64 v[200:201], v[170:171], v[190:191]
	v_add_f64 v[170:171], v[170:171], -v[178:179]
	v_add_f64 v[178:179], v[190:191], -v[194:195]
	v_fma_f64 v[220:221], v[200:201], -0.5, v[4:5]
	v_add_f64 v[200:201], v[164:165], v[188:189]
	v_add_f64 v[164:165], v[164:165], -v[172:173]
	v_add_f64 v[172:173], v[172:173], v[192:193]
	v_fma_f64 v[4:5], v[176:177], -0.5, v[4:5]
	v_add_f64 v[168:169], v[170:171], v[178:179]
	v_fma_f64 v[178:179], v[251:252], s[16:17], v[158:159]
	v_fma_f64 v[158:159], v[251:252], s[18:19], v[158:159]
	;; [unrolled: 1-line block ×3, first 2 shown]
	v_fma_f64 v[222:223], v[200:201], -0.5, v[6:7]
	v_add_f64 v[164:165], v[164:165], v[186:187]
	v_fma_f64 v[6:7], v[172:173], -0.5, v[6:7]
	v_add_f64 v[172:173], v[174:175], v[184:185]
	v_fma_f64 v[174:175], v[238:239], s[18:19], v[4:5]
	v_fma_f64 v[4:5], v[238:239], s[16:17], v[4:5]
	;; [unrolled: 1-line block ×4, first 2 shown]
	v_add_f64 v[184:185], v[52:53], -v[60:61]
	v_fma_f64 v[202:203], v[238:239], s[2:3], v[202:203]
	v_fma_f64 v[200:201], v[228:229], s[18:19], v[222:223]
	;; [unrolled: 1-line block ×8, first 2 shown]
	v_add_f64 v[166:167], v[58:59], -v[66:67]
	v_fma_f64 v[202:203], v[216:217], s[10:11], v[202:203]
	v_fma_f64 v[200:201], v[230:231], s[8:9], v[200:201]
	;; [unrolled: 1-line block ×6, first 2 shown]
	v_add_f64 v[168:169], v[44:45], -v[68:69]
	v_fma_f64 v[200:201], v[218:219], s[10:11], v[200:201]
	v_fma_f64 v[170:171], v[164:165], s[10:11], v[170:171]
	;; [unrolled: 1-line block ×3, first 2 shown]
	v_mul_f64 v[164:165], v[4:5], s[10:11]
	v_mul_f64 v[208:209], v[200:201], s[2:3]
	;; [unrolled: 1-line block ×3, first 2 shown]
	v_fma_f64 v[164:165], v[6:7], s[16:17], -v[164:165]
	v_mul_f64 v[6:7], v[6:7], s[10:11]
	v_fma_f64 v[208:209], v[202:203], s[20:21], v[208:209]
	v_mul_f64 v[202:203], v[202:203], s[8:9]
	v_fma_f64 v[176:177], v[174:175], s[10:11], v[176:177]
	v_mul_f64 v[174:175], v[174:175], s[18:19]
	v_fma_f64 v[4:5], v[4:5], s[18:19], -v[6:7]
	v_fma_f64 v[6:7], v[245:246], s[18:19], v[148:149]
	v_fma_f64 v[210:211], v[200:201], s[20:21], v[202:203]
	;; [unrolled: 1-line block ×6, first 2 shown]
	v_add_f64 v[234:235], v[158:159], -v[4:5]
	v_fma_f64 v[6:7], v[247:248], s[8:9], v[6:7]
	v_fma_f64 v[170:171], v[170:171], s[10:11], v[174:175]
	;; [unrolled: 1-line block ×9, first 2 shown]
	v_add_f64 v[206:207], v[178:179], v[170:171]
	v_fma_f64 v[174:175], v[245:246], s[2:3], v[174:175]
	v_fma_f64 v[156:157], v[245:246], s[8:9], v[156:157]
	v_add_f64 v[226:227], v[178:179], -v[170:171]
	v_add_f64 v[170:171], v[56:57], -v[64:65]
	;; [unrolled: 1-line block ×3, first 2 shown]
	v_fma_f64 v[214:215], v[142:143], s[10:11], v[202:203]
	v_fma_f64 v[212:213], v[140:141], s[10:11], v[200:201]
	;; [unrolled: 1-line block ×4, first 2 shown]
	v_add_f64 v[150:151], v[56:57], v[64:65]
	v_fma_f64 v[174:175], v[172:173], s[10:11], v[174:175]
	v_fma_f64 v[156:157], v[172:173], s[10:11], v[156:157]
	;; [unrolled: 1-line block ×3, first 2 shown]
	v_add_f64 v[202:203], v[214:215], v[210:211]
	v_add_f64 v[210:211], v[214:215], -v[210:211]
	v_add_f64 v[214:215], v[158:159], v[4:5]
	v_fma_f64 v[4:5], v[236:237], s[18:19], v[220:221]
	v_add_f64 v[200:201], v[212:213], v[208:209]
	v_add_f64 v[208:209], v[212:213], -v[208:209]
	v_fma_f64 v[150:151], v[150:151], -0.5, v[2:3]
	v_add_f64 v[204:205], v[174:175], v[176:177]
	v_add_f64 v[212:213], v[156:157], v[164:165]
	v_add_f64 v[232:233], v[156:157], -v[164:165]
	v_add_f64 v[164:165], v[46:47], -v[70:71]
	;; [unrolled: 1-line block ×5, first 2 shown]
	v_fma_f64 v[186:187], v[184:185], s[8:9], v[186:187]
	v_fma_f64 v[4:5], v[238:239], s[8:9], v[4:5]
	;; [unrolled: 1-line block ×5, first 2 shown]
	v_mul_f64 v[148:149], v[4:5], s[20:21]
	v_fma_f64 v[148:149], v[142:143], s[2:3], -v[148:149]
	v_mul_f64 v[142:143], v[142:143], s[20:21]
	v_add_f64 v[228:229], v[6:7], v[148:149]
	v_fma_f64 v[4:5], v[4:5], s[8:9], -v[142:143]
	v_add_f64 v[236:237], v[6:7], -v[148:149]
	v_add_f64 v[6:7], v[72:73], -v[60:61]
	;; [unrolled: 1-line block ×4, first 2 shown]
	v_add_f64 v[230:231], v[140:141], v[4:5]
	v_add_f64 v[238:239], v[140:141], -v[4:5]
	v_add_f64 v[4:5], v[40:41], -v[52:53]
	;; [unrolled: 1-line block ×6, first 2 shown]
	v_add_f64 v[4:5], v[4:5], v[6:7]
	v_add_f64 v[6:7], v[42:43], -v[54:55]
	v_add_f64 v[42:43], v[54:55], -v[42:43]
	;; [unrolled: 1-line block ×4, first 2 shown]
	v_add_f64 v[40:41], v[40:41], v[52:53]
	v_add_f64 v[6:7], v[6:7], v[140:141]
	v_add_f64 v[140:141], v[46:47], -v[58:59]
	v_add_f64 v[42:43], v[42:43], v[54:55]
	v_fma_f64 v[186:187], v[6:7], s[10:11], v[186:187]
	v_add_f64 v[140:141], v[140:141], v[142:143]
	v_add_f64 v[142:143], v[44:45], -v[56:57]
	v_add_f64 v[56:57], v[56:57], -v[44:45]
	v_add_f64 v[44:45], v[44:45], v[68:69]
	v_add_f64 v[142:143], v[142:143], v[148:149]
	;; [unrolled: 1-line block ×3, first 2 shown]
	v_add_f64 v[58:59], v[58:59], -v[46:47]
	v_add_f64 v[46:47], v[46:47], v[70:71]
	v_fma_f64 v[2:3], v[44:45], -0.5, v[2:3]
	v_fma_f64 v[156:157], v[142:143], s[10:11], v[156:157]
	v_fma_f64 v[148:149], v[148:149], -0.5, v[0:1]
	v_add_f64 v[44:45], v[58:59], v[60:61]
	v_fma_f64 v[0:1], v[46:47], -0.5, v[0:1]
	v_fma_f64 v[52:53], v[166:167], s[16:17], v[2:3]
	v_add_f64 v[46:47], v[56:57], v[62:63]
	v_fma_f64 v[58:59], v[184:185], s[16:17], v[243:244]
	v_fma_f64 v[2:3], v[166:167], s[18:19], v[2:3]
	v_mul_f64 v[172:173], v[156:157], s[2:3]
	v_fma_f64 v[158:159], v[168:169], s[16:17], v[148:149]
	v_fma_f64 v[54:55], v[170:171], s[18:19], v[0:1]
	;; [unrolled: 1-line block ×14, first 2 shown]
	v_mul_f64 v[56:57], v[52:53], s[16:17]
	v_fma_f64 v[0:1], v[44:45], s[10:11], v[0:1]
	v_fma_f64 v[172:173], v[158:159], s[20:21], v[172:173]
	v_mul_f64 v[158:159], v[158:159], s[8:9]
	v_fma_f64 v[56:57], v[54:55], s[10:11], v[56:57]
	v_mul_f64 v[54:55], v[54:55], s[18:19]
	v_mul_f64 v[44:45], v[0:1], s[10:11]
	v_fma_f64 v[158:159], v[156:157], s[20:21], v[158:159]
	v_fma_f64 v[156:157], v[174:175], s[16:17], v[144:145]
	;; [unrolled: 1-line block ×4, first 2 shown]
	v_fma_f64 v[44:45], v[2:3], s[16:17], -v[44:45]
	v_mul_f64 v[2:3], v[2:3], s[10:11]
	v_add_f64 v[222:223], v[186:187], v[158:159]
	v_fma_f64 v[156:157], v[176:177], s[2:3], v[156:157]
	v_add_f64 v[14:15], v[186:187], -v[158:159]
	v_add_f64 v[218:219], v[58:59], v[52:53]
	v_add_f64 v[10:11], v[58:59], -v[52:53]
	v_fma_f64 v[52:53], v[176:177], s[16:17], v[146:147]
	v_fma_f64 v[54:55], v[174:175], s[2:3], v[54:55]
	v_fma_f64 v[0:1], v[0:1], s[18:19], -v[2:3]
	v_fma_f64 v[2:3], v[174:175], s[18:19], v[144:145]
	v_fma_f64 v[156:157], v[4:5], s[10:11], v[156:157]
	v_fma_f64 v[52:53], v[174:175], s[8:9], v[52:53]
	v_fma_f64 v[54:55], v[40:41], s[10:11], v[54:55]
	v_fma_f64 v[2:3], v[176:177], s[8:9], v[2:3]
	v_add_f64 v[220:221], v[156:157], v[172:173]
	v_add_f64 v[12:13], v[156:157], -v[172:173]
	v_fma_f64 v[40:41], v[40:41], s[10:11], v[52:53]
	v_fma_f64 v[52:53], v[184:185], s[18:19], v[243:244]
	v_add_f64 v[8:9], v[54:55], -v[56:57]
	buffer_store_dword v8, off, s[60:63], 0 offset:28 ; 4-byte Folded Spill
	buffer_store_dword v9, off, s[60:63], 0 offset:32 ; 4-byte Folded Spill
	;; [unrolled: 1-line block ×4, first 2 shown]
	v_fma_f64 v[52:53], v[178:179], s[2:3], v[52:53]
	v_add_f64 v[192:193], v[40:41], v[44:45]
	v_add_f64 v[8:9], v[40:41], -v[44:45]
	v_fma_f64 v[40:41], v[178:179], s[16:17], v[241:242]
	v_fma_f64 v[2:3], v[4:5], s[10:11], v[2:3]
	v_add_f64 v[216:217], v[54:55], v[56:57]
	v_fma_f64 v[42:43], v[42:43], s[10:11], v[52:53]
	v_fma_f64 v[40:41], v[184:185], s[2:3], v[40:41]
	v_add_f64 v[194:195], v[42:43], v[0:1]
	v_add_f64 v[10:11], v[42:43], -v[0:1]
	v_fma_f64 v[0:1], v[168:169], s[18:19], v[148:149]
	v_fma_f64 v[42:43], v[164:165], s[16:17], v[150:151]
	;; [unrolled: 1-line block ×3, first 2 shown]
	buffer_store_dword v8, off, s[60:63], 0 offset:12 ; 4-byte Folded Spill
	buffer_store_dword v9, off, s[60:63], 0 offset:16 ; 4-byte Folded Spill
	;; [unrolled: 1-line block ×4, first 2 shown]
	v_fma_f64 v[0:1], v[170:171], s[8:9], v[0:1]
	v_fma_f64 v[42:43], v[166:167], s[2:3], v[42:43]
	;; [unrolled: 1-line block ×4, first 2 shown]
	v_mul_f64 v[40:41], v[0:1], s[20:21]
	v_fma_f64 v[40:41], v[6:7], s[2:3], -v[40:41]
	v_mul_f64 v[6:7], v[6:7], s[20:21]
	v_add_f64 v[176:177], v[2:3], v[40:41]
	v_fma_f64 v[0:1], v[0:1], s[8:9], -v[6:7]
	v_add_f64 v[2:3], v[2:3], -v[40:41]
	v_add_f64 v[178:179], v[4:5], v[0:1]
	v_add_f64 v[4:5], v[4:5], -v[0:1]
	buffer_store_dword v2, off, s[60:63], 0 offset:44 ; 4-byte Folded Spill
	buffer_store_dword v3, off, s[60:63], 0 offset:48 ; 4-byte Folded Spill
	;; [unrolled: 1-line block ×4, first 2 shown]
	ds_write_b128 v240, v[152:155]
	ds_write_b128 v240, v[200:203] offset:3264
	ds_write_b128 v240, v[204:207] offset:6528
	ds_write_b128 v240, v[212:215] offset:9792
	ds_write_b128 v240, v[228:231] offset:13056
	ds_write_b128 v240, v[180:183] offset:16320
	ds_write_b128 v240, v[208:211] offset:19584
	ds_write_b128 v240, v[224:227] offset:22848
	ds_write_b128 v240, v[232:235] offset:26112
	ds_write_b128 v240, v[236:239] offset:29376
	s_and_saveexec_b32 s1, s0
	s_cbranch_execz .LBB0_11
; %bb.10:
	ds_write_b128 v240, v[196:199] offset:2720
	ds_write_b128 v240, v[220:223] offset:5984
	;; [unrolled: 1-line block ×7, first 2 shown]
	s_clause 0x3
	buffer_load_dword v0, off, s[60:63], 0 offset:28
	buffer_load_dword v1, off, s[60:63], 0 offset:32
	buffer_load_dword v2, off, s[60:63], 0 offset:36
	buffer_load_dword v3, off, s[60:63], 0 offset:40
	s_waitcnt vmcnt(0)
	ds_write_b128 v240, v[0:3] offset:25568
	s_clause 0x3
	buffer_load_dword v0, off, s[60:63], 0 offset:12
	buffer_load_dword v1, off, s[60:63], 0 offset:16
	buffer_load_dword v2, off, s[60:63], 0 offset:20
	buffer_load_dword v3, off, s[60:63], 0 offset:24
	s_waitcnt vmcnt(0)
	ds_write_b128 v240, v[0:3] offset:28832
	;; [unrolled: 7-line block ×3, first 2 shown]
.LBB0_11:
	s_or_b32 exec_lo, exec_lo, s1
	s_waitcnt lgkmcnt(0)
	s_waitcnt_vscnt null, 0x0
	s_barrier
	buffer_gl0_inv
	s_and_saveexec_b32 s8, vcc_lo
	s_cbranch_execz .LBB0_13
; %bb.12:
	s_add_u32 s2, s12, 0x7f80
	s_addc_u32 s3, s13, 0
	v_add_co_u32 v0, s1, s2, v255
	s_clause 0x1
	global_load_dwordx4 v[2:5], v255, s[2:3]
	global_load_dwordx4 v[40:43], v255, s[2:3] offset:1920
	v_add_co_ci_u32_e64 v1, null, s3, 0, s1
	v_add_co_u32 v6, s1, 0x800, v0
	ds_read_b128 v[140:143], v240
	v_add_co_ci_u32_e64 v7, s1, 0, v1, s1
	global_load_dwordx4 v[44:47], v[6:7], off offset:1792
	v_add_co_u32 v6, s1, 0x1000, v0
	v_add_co_ci_u32_e64 v7, s1, 0, v1, s1
	global_load_dwordx4 v[52:55], v[6:7], off offset:1664
	v_add_co_u32 v6, s1, 0x1800, v0
	;; [unrolled: 3-line block ×7, first 2 shown]
	v_add_co_ci_u32_e64 v7, s1, 0, v1, s1
	s_waitcnt vmcnt(8) lgkmcnt(0)
	v_mul_f64 v[144:145], v[142:143], v[4:5]
	v_mul_f64 v[146:147], v[140:141], v[4:5]
	global_load_dwordx4 v[4:7], v[6:7], off offset:896
	v_fma_f64 v[140:141], v[140:141], v[2:3], -v[144:145]
	v_fma_f64 v[142:143], v[142:143], v[2:3], v[146:147]
	v_add_co_u32 v2, s1, 0x4800, v0
	v_add_co_ci_u32_e64 v3, s1, 0, v1, s1
	v_add_co_u32 v168, s1, 0x5000, v0
	v_add_co_ci_u32_e64 v169, s1, 0, v1, s1
	global_load_dwordx4 v[144:147], v[2:3], off offset:768
	v_add_co_u32 v184, s1, 0x5800, v0
	v_add_co_ci_u32_e64 v185, s1, 0, v1, s1
	ds_write_b128 v240, v[140:143]
	ds_read_b128 v[140:143], v255 offset:1920
	ds_read_b128 v[148:151], v255 offset:3840
	ds_read_b128 v[172:175], v255 offset:5760
	ds_read_b128 v[188:191], v255 offset:30720
	s_waitcnt vmcnt(9) lgkmcnt(3)
	v_mul_f64 v[2:3], v[142:143], v[42:43]
	v_mul_f64 v[42:43], v[140:141], v[42:43]
	s_waitcnt vmcnt(8) lgkmcnt(2)
	v_mul_f64 v[170:171], v[150:151], v[46:47]
	v_mul_f64 v[46:47], v[148:149], v[46:47]
	v_fma_f64 v[164:165], v[140:141], v[40:41], -v[2:3]
	v_fma_f64 v[166:167], v[142:143], v[40:41], v[42:43]
	global_load_dwordx4 v[40:43], v[168:169], off offset:640
	v_fma_f64 v[168:169], v[148:149], v[44:45], -v[170:171]
	v_fma_f64 v[170:171], v[150:151], v[44:45], v[46:47]
	ds_read_b128 v[44:47], v255 offset:7680
	s_waitcnt vmcnt(8) lgkmcnt(2)
	v_mul_f64 v[2:3], v[174:175], v[54:55]
	v_mul_f64 v[54:55], v[172:173], v[54:55]
	ds_read_b128 v[140:143], v255 offset:9600
	v_fma_f64 v[148:149], v[172:173], v[52:53], -v[2:3]
	s_waitcnt vmcnt(7) lgkmcnt(1)
	v_mul_f64 v[2:3], v[46:47], v[58:59]
	v_mul_f64 v[58:59], v[44:45], v[58:59]
	v_fma_f64 v[150:151], v[174:175], v[52:53], v[54:55]
	global_load_dwordx4 v[52:55], v[184:185], off offset:512
	v_fma_f64 v[44:45], v[44:45], v[56:57], -v[2:3]
	v_fma_f64 v[46:47], v[46:47], v[56:57], v[58:59]
	ds_read_b128 v[56:59], v255 offset:11520
	s_waitcnt vmcnt(7) lgkmcnt(1)
	v_mul_f64 v[172:173], v[142:143], v[62:63]
	v_mul_f64 v[2:3], v[140:141], v[62:63]
	v_add_co_u32 v62, s1, 0x6000, v0
	v_add_co_ci_u32_e64 v63, s1, 0, v1, s1
	v_fma_f64 v[140:141], v[140:141], v[60:61], -v[172:173]
	v_fma_f64 v[142:143], v[142:143], v[60:61], v[2:3]
	global_load_dwordx4 v[60:63], v[62:63], off offset:384
	s_waitcnt vmcnt(7) lgkmcnt(0)
	v_mul_f64 v[2:3], v[58:59], v[66:67]
	v_mul_f64 v[66:67], v[56:57], v[66:67]
	ds_read_b128 v[184:187], v255 offset:28800
	v_add_co_u32 v172, s1, 0x6800, v0
	v_add_co_ci_u32_e64 v173, s1, 0, v1, s1
	v_add_co_u32 v0, s1, 0x7000, v0
	v_add_co_ci_u32_e64 v1, s1, 0, v1, s1
	v_fma_f64 v[56:57], v[56:57], v[64:65], -v[2:3]
	v_fma_f64 v[58:59], v[58:59], v[64:65], v[66:67]
	ds_read_b128 v[64:67], v255 offset:13440
	s_waitcnt vmcnt(6) lgkmcnt(0)
	v_mul_f64 v[2:3], v[66:67], v[70:71]
	v_mul_f64 v[70:71], v[64:65], v[70:71]
	v_fma_f64 v[64:65], v[64:65], v[68:69], -v[2:3]
	v_fma_f64 v[66:67], v[66:67], v[68:69], v[70:71]
	ds_read_b128 v[68:71], v255 offset:15360
	s_waitcnt vmcnt(5) lgkmcnt(0)
	v_mul_f64 v[2:3], v[70:71], v[74:75]
	v_mul_f64 v[74:75], v[68:69], v[74:75]
	;; [unrolled: 6-line block ×7, first 2 shown]
	v_fma_f64 v[52:53], v[52:53], v[60:61], -v[6:7]
	v_fma_f64 v[54:55], v[54:55], v[60:61], v[62:63]
	global_load_dwordx4 v[60:63], v[172:173], off offset:256
	ds_read_b128 v[172:175], v255 offset:26880
	s_waitcnt vmcnt(0) lgkmcnt(0)
	v_mul_f64 v[6:7], v[174:175], v[62:63]
	v_mul_f64 v[62:63], v[172:173], v[62:63]
	v_fma_f64 v[172:173], v[172:173], v[60:61], -v[6:7]
	v_fma_f64 v[174:175], v[174:175], v[60:61], v[62:63]
	global_load_dwordx4 v[60:63], v[0:1], off offset:128
	s_waitcnt vmcnt(0)
	v_mul_f64 v[0:1], v[186:187], v[62:63]
	v_mul_f64 v[6:7], v[184:185], v[62:63]
	v_fma_f64 v[184:185], v[184:185], v[60:61], -v[0:1]
	v_or_b32_e32 v0, 0x7800, v255
	v_fma_f64 v[186:187], v[186:187], v[60:61], v[6:7]
	global_load_dwordx4 v[60:63], v0, s[2:3]
	s_waitcnt vmcnt(0)
	v_mul_f64 v[0:1], v[190:191], v[62:63]
	v_mul_f64 v[6:7], v[188:189], v[62:63]
	v_fma_f64 v[188:189], v[188:189], v[60:61], -v[0:1]
	v_fma_f64 v[190:191], v[190:191], v[60:61], v[6:7]
	ds_write_b128 v255, v[164:167] offset:1920
	ds_write_b128 v255, v[168:171] offset:3840
	;; [unrolled: 1-line block ×16, first 2 shown]
.LBB0_13:
	s_or_b32 exec_lo, exec_lo, s8
	s_waitcnt lgkmcnt(0)
	s_barrier
	buffer_gl0_inv
	s_and_saveexec_b32 s1, vcc_lo
	s_cbranch_execz .LBB0_15
; %bb.14:
	ds_read_b128 v[152:155], v240
	ds_read_b128 v[200:203], v240 offset:1920
	ds_read_b128 v[204:207], v240 offset:3840
	;; [unrolled: 1-line block ×16, first 2 shown]
.LBB0_15:
	s_or_b32 exec_lo, exec_lo, s1
	s_waitcnt lgkmcnt(0)
	buffer_store_dword v12, off, s[60:63], 0 offset:520 ; 4-byte Folded Spill
	buffer_store_dword v13, off, s[60:63], 0 offset:524 ; 4-byte Folded Spill
	;; [unrolled: 1-line block ×4, first 2 shown]
	v_add_f64 v[10:11], v[206:207], -v[162:163]
	v_add_f64 v[2:3], v[162:163], v[206:207]
	s_mov_b32 s24, 0x2a9d6da3
	s_mov_b32 s22, 0x75d4884
	;; [unrolled: 1-line block ×4, first 2 shown]
	v_add_f64 v[52:53], v[214:215], v[178:179]
	s_mov_b32 s2, 0x2b2883cd
	s_mov_b32 s3, 0x3fdc86fa
	;; [unrolled: 1-line block ×6, first 2 shown]
	v_add_f64 v[241:242], v[160:161], v[204:205]
	v_add_f64 v[16:17], v[214:215], -v[178:179]
	v_add_f64 v[84:85], v[204:205], -v[160:161]
	s_mov_b32 s26, 0x7c9e640b
	s_mov_b32 s27, 0xbfeca52d
	v_add_f64 v[247:248], v[212:213], v[176:177]
	v_add_f64 v[24:25], v[230:231], -v[194:195]
	v_add_f64 v[112:113], v[212:213], -v[176:177]
	v_add_f64 v[60:61], v[230:231], v[194:195]
	v_mul_f64 v[6:7], v[10:11], s[24:25]
	s_mov_b32 s28, 0xeb564b22
	s_mov_b32 s8, 0x3259b75e
	;; [unrolled: 1-line block ×4, first 2 shown]
	v_add_f64 v[249:250], v[228:229], v[192:193]
	v_mul_f64 v[8:9], v[52:53], s[2:3]
	v_add_f64 v[46:47], v[228:229], -v[192:193]
	v_add_f64 v[38:39], v[182:183], -v[218:219]
	s_mov_b32 s20, 0x923c349f
	s_mov_b32 s21, 0xbfeec746
	v_add_f64 v[62:63], v[216:217], v[180:181]
	v_add_f64 v[148:149], v[218:219], v[182:183]
	s_mov_b32 s18, 0xc61f0d01
	s_mov_b32 s19, 0xbfd183b1
	v_add_f64 v[68:69], v[180:181], -v[216:217]
	v_add_f64 v[78:79], v[210:211], -v[222:223]
	v_add_f64 v[66:67], v[220:221], v[208:209]
	v_add_f64 v[150:151], v[222:223], v[210:211]
	v_mul_f64 v[22:23], v[24:25], s[28:29]
	v_add_f64 v[140:141], v[208:209], -v[220:221]
	buffer_store_dword v6, off, s[60:63], 0 offset:920 ; 4-byte Folded Spill
	buffer_store_dword v7, off, s[60:63], 0 offset:924 ; 4-byte Folded Spill
	v_mul_f64 v[26:27], v[60:61], s[8:9]
	v_add_f64 v[48:49], v[226:227], -v[198:199]
	s_mov_b32 s46, 0x4363dd80
	s_mov_b32 s47, 0x3fe0d888
	;; [unrolled: 1-line block ×4, first 2 shown]
	v_add_f64 v[72:73], v[224:225], v[196:197]
	v_mul_f64 v[28:29], v[38:39], s[20:21]
	v_add_f64 v[142:143], v[224:225], -v[196:197]
	v_add_f64 v[20:21], v[234:235], -v[238:239]
	s_mov_b32 s44, 0xacd6c6b4
	v_mul_f64 v[36:37], v[148:149], s[18:19]
	s_mov_b32 s45, 0xbfc7851a
	s_mov_b32 s42, 0x7faef3
	;; [unrolled: 1-line block ×3, first 2 shown]
	v_mul_f64 v[34:35], v[78:79], s[36:37]
	v_mul_f64 v[243:244], v[10:11], s[28:29]
	v_mul_f64 v[76:77], v[150:151], s[34:35]
	v_mul_f64 v[253:254], v[2:3], s[8:9]
	v_mul_f64 v[164:165], v[16:17], s[36:37]
	v_mul_f64 v[245:246], v[52:53], s[34:35]
	v_mul_f64 v[146:147], v[24:25], s[44:45]
	v_mul_f64 v[251:252], v[60:61], s[42:43]
	v_mul_f64 v[86:87], v[38:39], s[46:47]
	v_mul_f64 v[118:119], v[148:149], s[38:39]
	s_mov_b32 s49, 0x3feec746
	s_mov_b32 s48, s20
	;; [unrolled: 1-line block ×6, first 2 shown]
	v_mul_f64 v[50:51], v[20:21], s[44:45]
	v_mul_f64 v[158:159], v[20:21], s[50:51]
	s_mov_b32 s55, 0x3fc7851a
	s_mov_b32 s54, s44
	;; [unrolled: 1-line block ×5, first 2 shown]
	v_fma_f64 v[168:169], v[241:242], s[8:9], -v[243:244]
	s_mov_b32 s59, 0x3fefdd0d
	v_fma_f64 v[170:171], v[84:85], s[28:29], v[253:254]
	s_mov_b32 s58, s28
	v_add_f64 v[56:57], v[202:203], -v[14:15]
	v_add_f64 v[58:59], v[14:15], v[202:203]
	v_mul_f64 v[14:15], v[2:3], s[22:23]
	v_add_f64 v[54:55], v[12:13], v[200:201]
	v_add_f64 v[64:65], v[200:201], -v[12:13]
	v_mul_f64 v[12:13], v[16:17], s[26:27]
	buffer_store_dword v14, off, s[60:63], 0 offset:936 ; 4-byte Folded Spill
	buffer_store_dword v15, off, s[60:63], 0 offset:940 ; 4-byte Folded Spill
	;; [unrolled: 1-line block ×4, first 2 shown]
	v_mul_f64 v[30:31], v[56:57], s[10:11]
	v_mul_f64 v[32:33], v[58:59], s[16:17]
	v_fma_f64 v[42:43], v[247:248], s[2:3], -v[12:13]
	v_mul_f64 v[44:45], v[58:59], s[22:23]
	v_fma_f64 v[6:7], v[241:242], s[22:23], -v[6:7]
	v_fma_f64 v[0:1], v[54:55], s[16:17], -v[30:31]
	v_fma_f64 v[4:5], v[64:65], s[10:11], v[32:33]
	v_add_f64 v[0:1], v[152:153], v[0:1]
	v_add_f64 v[4:5], v[154:155], v[4:5]
	;; [unrolled: 1-line block ×4, first 2 shown]
	v_fma_f64 v[40:41], v[84:85], s[24:25], v[14:15]
	v_fma_f64 v[6:7], v[112:113], s[26:27], v[8:9]
	v_add_f64 v[4:5], v[40:41], v[4:5]
	v_fma_f64 v[40:41], v[249:250], s[8:9], -v[22:23]
	v_add_f64 v[4:5], v[6:7], v[4:5]
	v_fma_f64 v[6:7], v[46:47], s[28:29], v[26:27]
	v_add_f64 v[0:1], v[40:41], v[0:1]
	v_mul_f64 v[40:41], v[48:49], s[40:41]
	v_add_f64 v[4:5], v[6:7], v[4:5]
	v_fma_f64 v[6:7], v[62:63], s[18:19], -v[28:29]
	v_add_f64 v[0:1], v[6:7], v[0:1]
	v_fma_f64 v[6:7], v[68:69], s[20:21], v[36:37]
	v_add_f64 v[4:5], v[6:7], v[4:5]
	v_fma_f64 v[6:7], v[66:67], s[34:35], -v[34:35]
	v_add_f64 v[0:1], v[6:7], v[0:1]
	v_fma_f64 v[6:7], v[140:141], s[36:37], v[76:77]
	v_add_f64 v[6:7], v[6:7], v[4:5]
	v_fma_f64 v[4:5], v[72:73], s[38:39], -v[40:41]
	v_add_f64 v[42:43], v[4:5], v[0:1]
	v_add_f64 v[4:5], v[226:227], v[198:199]
	v_mul_f64 v[70:71], v[4:5], s[38:39]
	v_fma_f64 v[0:1], v[142:143], s[40:41], v[70:71]
	v_add_f64 v[6:7], v[0:1], v[6:7]
	v_add_f64 v[0:1], v[232:233], v[236:237]
	v_fma_f64 v[144:145], v[0:1], s[42:43], -v[50:51]
	v_add_f64 v[80:81], v[144:145], v[42:43]
	v_add_f64 v[42:43], v[234:235], v[238:239]
	v_add_f64 v[144:145], v[232:233], -v[236:237]
	v_mul_f64 v[74:75], v[42:43], s[42:43]
	v_mul_f64 v[156:157], v[42:43], s[16:17]
	v_fma_f64 v[166:167], v[144:145], s[44:45], v[74:75]
	v_add_f64 v[82:83], v[166:167], v[6:7]
	v_mul_f64 v[6:7], v[56:57], s[24:25]
	v_mul_f64 v[166:167], v[4:5], s[2:3]
	buffer_store_dword v80, off, s[60:63], 0 offset:60 ; 4-byte Folded Spill
	buffer_store_dword v81, off, s[60:63], 0 offset:64 ; 4-byte Folded Spill
	;; [unrolled: 1-line block ×8, first 2 shown]
	v_mul_f64 v[80:81], v[78:79], s[48:49]
	v_mul_f64 v[82:83], v[150:151], s[18:19]
	v_fma_f64 v[6:7], v[54:55], s[22:23], -v[6:7]
	v_add_f64 v[6:7], v[152:153], v[6:7]
	v_add_f64 v[6:7], v[168:169], v[6:7]
	v_fma_f64 v[168:169], v[64:65], s[24:25], v[44:45]
	v_mul_f64 v[44:45], v[48:49], s[30:31]
	v_add_f64 v[168:169], v[154:155], v[168:169]
	v_add_f64 v[168:169], v[170:171], v[168:169]
	v_fma_f64 v[170:171], v[247:248], s[34:35], -v[164:165]
	v_add_f64 v[6:7], v[170:171], v[6:7]
	v_fma_f64 v[170:171], v[112:113], s[36:37], v[245:246]
	v_add_f64 v[168:169], v[170:171], v[168:169]
	v_fma_f64 v[170:171], v[249:250], s[42:43], -v[146:147]
	v_add_f64 v[6:7], v[170:171], v[6:7]
	v_fma_f64 v[170:171], v[46:47], s[44:45], v[251:252]
	;; [unrolled: 4-line block ×6, first 2 shown]
	v_mul_f64 v[168:169], v[10:11], s[36:37]
	v_add_f64 v[116:117], v[6:7], v[170:171]
	v_mul_f64 v[6:7], v[56:57], s[26:27]
	buffer_store_dword v6, off, s[60:63], 0 offset:896 ; 4-byte Folded Spill
	buffer_store_dword v7, off, s[60:63], 0 offset:900 ; 4-byte Folded Spill
	;; [unrolled: 1-line block ×4, first 2 shown]
	v_fma_f64 v[6:7], v[54:55], s[2:3], -v[6:7]
	v_fma_f64 v[172:173], v[241:242], s[34:35], -v[168:169]
	v_mul_f64 v[168:169], v[58:59], s[2:3]
	buffer_store_dword v168, off, s[60:63], 0 offset:912 ; 4-byte Folded Spill
	buffer_store_dword v169, off, s[60:63], 0 offset:916 ; 4-byte Folded Spill
	v_add_f64 v[6:7], v[152:153], v[6:7]
	v_add_f64 v[6:7], v[172:173], v[6:7]
	v_fma_f64 v[172:173], v[64:65], s[26:27], v[168:169]
	v_mul_f64 v[168:169], v[2:3], s[34:35]
	buffer_store_dword v168, off, s[60:63], 0 offset:624 ; 4-byte Folded Spill
	buffer_store_dword v169, off, s[60:63], 0 offset:628 ; 4-byte Folded Spill
	v_add_f64 v[172:173], v[154:155], v[172:173]
	v_fma_f64 v[174:175], v[84:85], s[36:37], v[168:169]
	v_mul_f64 v[168:169], v[16:17], s[54:55]
	buffer_store_dword v168, off, s[60:63], 0 offset:600 ; 4-byte Folded Spill
	buffer_store_dword v169, off, s[60:63], 0 offset:604 ; 4-byte Folded Spill
	v_add_f64 v[172:173], v[174:175], v[172:173]
	v_fma_f64 v[174:175], v[247:248], s[42:43], -v[168:169]
	v_mul_f64 v[168:169], v[52:53], s[42:43]
	buffer_store_dword v168, off, s[60:63], 0 offset:632 ; 4-byte Folded Spill
	buffer_store_dword v169, off, s[60:63], 0 offset:636 ; 4-byte Folded Spill
	v_add_f64 v[6:7], v[174:175], v[6:7]
	v_fma_f64 v[174:175], v[112:113], s[54:55], v[168:169]
	v_mul_f64 v[168:169], v[24:25], s[48:49]
	buffer_store_dword v168, off, s[60:63], 0 offset:592 ; 4-byte Folded Spill
	buffer_store_dword v169, off, s[60:63], 0 offset:596 ; 4-byte Folded Spill
	v_add_f64 v[172:173], v[174:175], v[172:173]
	v_fma_f64 v[174:175], v[249:250], s[18:19], -v[168:169]
	;; [unrolled: 10-line block ×6, first 2 shown]
	v_add_f64 v[168:169], v[172:173], v[6:7]
	v_mul_f64 v[6:7], v[42:43], s[38:39]
	buffer_store_dword v6, off, s[60:63], 0 offset:576 ; 4-byte Folded Spill
	buffer_store_dword v7, off, s[60:63], 0 offset:580 ; 4-byte Folded Spill
	v_mul_f64 v[172:173], v[10:11], s[44:45]
	v_fma_f64 v[6:7], v[144:145], s[40:41], v[6:7]
	v_add_f64 v[170:171], v[6:7], v[174:175]
	v_mul_f64 v[6:7], v[56:57], s[28:29]
	buffer_store_dword v6, off, s[60:63], 0 offset:944 ; 4-byte Folded Spill
	buffer_store_dword v7, off, s[60:63], 0 offset:948 ; 4-byte Folded Spill
	;; [unrolled: 1-line block ×4, first 2 shown]
	v_fma_f64 v[6:7], v[54:55], s[8:9], -v[6:7]
	v_fma_f64 v[184:185], v[241:242], s[42:43], -v[172:173]
	v_mul_f64 v[172:173], v[58:59], s[8:9]
	v_add_f64 v[6:7], v[152:153], v[6:7]
	v_mov_b32_e32 v18, v172
	v_mov_b32_e32 v19, v173
	v_add_f64 v[6:7], v[184:185], v[6:7]
	v_fma_f64 v[184:185], v[64:65], s[28:29], v[172:173]
	v_mul_f64 v[172:173], v[2:3], s[42:43]
	buffer_store_dword v172, off, s[60:63], 0 offset:760 ; 4-byte Folded Spill
	buffer_store_dword v173, off, s[60:63], 0 offset:764 ; 4-byte Folded Spill
	v_add_f64 v[184:185], v[154:155], v[184:185]
	v_fma_f64 v[186:187], v[84:85], s[44:45], v[172:173]
	v_mul_f64 v[172:173], v[16:17], s[48:49]
	buffer_store_dword v172, off, s[60:63], 0 offset:752 ; 4-byte Folded Spill
	buffer_store_dword v173, off, s[60:63], 0 offset:756 ; 4-byte Folded Spill
	v_add_f64 v[184:185], v[186:187], v[184:185]
	v_fma_f64 v[186:187], v[247:248], s[18:19], -v[172:173]
	v_mul_f64 v[172:173], v[52:53], s[18:19]
	buffer_store_dword v172, off, s[60:63], 0 offset:768 ; 4-byte Folded Spill
	buffer_store_dword v173, off, s[60:63], 0 offset:772 ; 4-byte Folded Spill
	v_add_f64 v[6:7], v[186:187], v[6:7]
	v_fma_f64 v[186:187], v[112:113], s[48:49], v[172:173]
	v_mul_f64 v[172:173], v[24:25], s[50:51]
	buffer_store_dword v172, off, s[60:63], 0 offset:728 ; 4-byte Folded Spill
	buffer_store_dword v173, off, s[60:63], 0 offset:732 ; 4-byte Folded Spill
	v_add_f64 v[184:185], v[186:187], v[184:185]
	v_fma_f64 v[186:187], v[249:250], s[16:17], -v[172:173]
	;; [unrolled: 10-line block ×6, first 2 shown]
	v_add_f64 v[172:173], v[184:185], v[6:7]
	v_mul_f64 v[6:7], v[42:43], s[22:23]
	buffer_store_dword v6, off, s[60:63], 0 offset:656 ; 4-byte Folded Spill
	buffer_store_dword v7, off, s[60:63], 0 offset:660 ; 4-byte Folded Spill
	v_mul_f64 v[184:185], v[10:11], s[46:47]
	buffer_store_dword v184, off, s[60:63], 0 offset:792 ; 4-byte Folded Spill
	buffer_store_dword v185, off, s[60:63], 0 offset:796 ; 4-byte Folded Spill
	v_fma_f64 v[6:7], v[144:145], s[52:53], v[6:7]
	v_add_f64 v[174:175], v[6:7], v[186:187]
	v_mul_f64 v[6:7], v[56:57], s[20:21]
	v_fma_f64 v[188:189], v[241:242], s[38:39], -v[184:185]
	v_mul_f64 v[184:185], v[16:17], s[52:53]
	v_mov_b32_e32 v15, v7
	v_mov_b32_e32 v14, v6
	v_fma_f64 v[6:7], v[54:55], s[18:19], -v[6:7]
	v_add_f64 v[6:7], v[152:153], v[6:7]
	v_add_f64 v[188:189], v[188:189], v[6:7]
	v_mul_f64 v[6:7], v[58:59], s[18:19]
	v_mov_b32_e32 v9, v7
	v_mov_b32_e32 v8, v6
	v_fma_f64 v[190:191], v[64:65], s[20:21], v[6:7]
	v_mul_f64 v[6:7], v[2:3], s[38:39]
	buffer_store_dword v6, off, s[60:63], 0 offset:816 ; 4-byte Folded Spill
	buffer_store_dword v7, off, s[60:63], 0 offset:820 ; 4-byte Folded Spill
	;; [unrolled: 1-line block ×4, first 2 shown]
	v_add_f64 v[190:191], v[154:155], v[190:191]
	v_fma_f64 v[6:7], v[84:85], s[46:47], v[6:7]
	v_add_f64 v[6:7], v[6:7], v[190:191]
	v_fma_f64 v[190:191], v[247:248], s[22:23], -v[184:185]
	v_mul_f64 v[184:185], v[52:53], s[22:23]
	buffer_store_dword v184, off, s[60:63], 0 offset:848 ; 4-byte Folded Spill
	buffer_store_dword v185, off, s[60:63], 0 offset:852 ; 4-byte Folded Spill
	v_add_f64 v[188:189], v[190:191], v[188:189]
	v_fma_f64 v[190:191], v[112:113], s[52:53], v[184:185]
	v_mul_f64 v[184:185], v[24:25], s[26:27]
	buffer_store_dword v184, off, s[60:63], 0 offset:808 ; 4-byte Folded Spill
	buffer_store_dword v185, off, s[60:63], 0 offset:812 ; 4-byte Folded Spill
	v_add_f64 v[6:7], v[190:191], v[6:7]
	v_fma_f64 v[190:191], v[249:250], s[2:3], -v[184:185]
	v_mul_f64 v[184:185], v[60:61], s[2:3]
	buffer_store_dword v184, off, s[60:63], 0 offset:856 ; 4-byte Folded Spill
	buffer_store_dword v185, off, s[60:63], 0 offset:860 ; 4-byte Folded Spill
	v_add_f64 v[188:189], v[190:191], v[188:189]
	v_fma_f64 v[190:191], v[46:47], s[26:27], v[184:185]
	v_mul_f64 v[184:185], v[38:39], s[44:45]
	buffer_store_dword v184, off, s[60:63], 0 offset:840 ; 4-byte Folded Spill
	buffer_store_dword v185, off, s[60:63], 0 offset:844 ; 4-byte Folded Spill
	;; [unrolled: 10-line block ×5, first 2 shown]
	v_add_f64 v[6:7], v[190:191], v[6:7]
	s_waitcnt_vscnt null, 0x0
	s_barrier
	buffer_gl0_inv
	v_fma_f64 v[190:191], v[0:1], s[34:35], -v[184:185]
	v_add_f64 v[184:185], v[190:191], v[188:189]
	v_mul_f64 v[188:189], v[42:43], s[34:35]
	v_fma_f64 v[190:191], v[144:145], s[36:37], v[188:189]
	v_add_f64 v[186:187], v[190:191], v[6:7]
	s_and_saveexec_b32 s1, vcc_lo
	s_cbranch_execz .LBB0_17
; %bb.16:
	v_add_f64 v[6:7], v[154:155], v[202:203]
	v_add_f64 v[200:201], v[152:153], v[200:201]
	v_mul_f64 v[202:203], v[54:55], s[18:19]
	v_add_f64 v[6:7], v[206:207], v[6:7]
	v_add_f64 v[200:201], v[204:205], v[200:201]
	v_mul_f64 v[206:207], v[54:55], s[8:9]
	v_add_f64 v[202:203], v[202:203], v[14:15]
	v_mul_f64 v[204:205], v[64:65], s[28:29]
	v_add_f64 v[6:7], v[214:215], v[6:7]
	v_add_f64 v[200:201], v[212:213], v[200:201]
	v_mul_f64 v[212:213], v[64:65], s[24:25]
	v_mul_f64 v[214:215], v[54:55], s[22:23]
	v_add_f64 v[204:205], v[18:19], -v[204:205]
	v_add_f64 v[6:7], v[230:231], v[6:7]
	v_add_f64 v[200:201], v[228:229], v[200:201]
	v_mul_f64 v[228:229], v[144:145], s[58:59]
	v_mul_f64 v[230:231], v[249:250], s[2:3]
	v_add_f64 v[6:7], v[182:183], v[6:7]
	v_add_f64 v[180:181], v[180:181], v[200:201]
	v_add_f64 v[6:7], v[210:211], v[6:7]
	v_add_f64 v[180:181], v[208:209], v[180:181]
	v_mul_f64 v[208:209], v[64:65], s[26:27]
	v_mul_f64 v[210:211], v[54:55], s[2:3]
	v_add_f64 v[6:7], v[226:227], v[6:7]
	v_add_f64 v[180:181], v[224:225], v[180:181]
	;; [unrolled: 6-line block ×3, first 2 shown]
	v_mul_f64 v[236:237], v[38:39], s[36:37]
	v_mul_f64 v[238:239], v[140:141], s[30:31]
	v_add_f64 v[6:7], v[198:199], v[6:7]
	v_add_f64 v[180:181], v[196:197], v[180:181]
	v_mul_f64 v[198:199], v[64:65], s[36:37]
	v_add_f64 v[6:7], v[222:223], v[6:7]
	v_add_f64 v[182:183], v[220:221], v[180:181]
	v_fma_f64 v[200:201], v[58:59], s[34:35], v[198:199]
	v_add_f64 v[180:181], v[218:219], v[6:7]
	v_add_f64 v[182:183], v[216:217], v[182:183]
	v_mul_f64 v[218:219], v[56:57], s[40:41]
	v_mul_f64 v[216:217], v[56:57], s[44:45]
	;; [unrolled: 1-line block ×3, first 2 shown]
	v_add_f64 v[200:201], v[154:155], v[200:201]
	v_add_f64 v[6:7], v[194:195], v[180:181]
	;; [unrolled: 1-line block ×3, first 2 shown]
	v_mul_f64 v[182:183], v[64:65], s[44:45]
	v_mul_f64 v[194:195], v[64:65], s[40:41]
	v_fma_f64 v[222:223], v[54:55], s[38:39], -v[218:219]
	v_fma_f64 v[218:219], v[54:55], s[38:39], v[218:219]
	v_fma_f64 v[224:225], v[54:55], s[34:35], -v[56:57]
	v_fma_f64 v[56:57], v[54:55], s[34:35], v[56:57]
	v_fma_f64 v[220:221], v[54:55], s[42:43], -v[216:217]
	v_fma_f64 v[216:217], v[54:55], s[42:43], v[216:217]
	v_mul_f64 v[54:55], v[54:55], s[16:17]
	v_fma_f64 v[192:193], v[58:59], s[42:43], v[182:183]
	v_fma_f64 v[182:183], v[58:59], s[42:43], -v[182:183]
	v_fma_f64 v[196:197], v[58:59], s[38:39], v[194:195]
	v_fma_f64 v[194:195], v[58:59], s[38:39], -v[194:195]
	v_fma_f64 v[58:59], v[58:59], s[34:35], -v[198:199]
	v_mul_f64 v[198:199], v[64:65], s[20:21]
	v_mul_f64 v[64:65], v[64:65], s[10:11]
	v_add_f64 v[220:221], v[152:153], v[220:221]
	v_add_f64 v[54:55], v[54:55], v[30:31]
	;; [unrolled: 1-line block ×6, first 2 shown]
	v_add_f64 v[198:199], v[8:9], -v[198:199]
	s_clause 0x3
	buffer_load_dword v8, off, s[60:63], 0 offset:944
	buffer_load_dword v9, off, s[60:63], 0 offset:948
	;; [unrolled: 1-line block ×4, first 2 shown]
	v_add_f64 v[64:65], v[32:33], -v[64:65]
	s_waitcnt vmcnt(2)
	v_add_f64 v[206:207], v[206:207], v[8:9]
	s_waitcnt vmcnt(0)
	v_add_f64 v[208:209], v[190:191], -v[208:209]
	s_clause 0x1
	buffer_load_dword v190, off, s[60:63], 0 offset:896
	buffer_load_dword v191, off, s[60:63], 0 offset:900
	v_add_f64 v[8:9], v[152:153], v[222:223]
	v_mov_b32_e32 v223, v75
	v_mov_b32_e32 v222, v74
	;; [unrolled: 1-line block ×4, first 2 shown]
	s_waitcnt vmcnt(0)
	v_add_f64 v[210:211], v[210:211], v[190:191]
	s_clause 0x1
	buffer_load_dword v190, off, s[60:63], 0 offset:864
	buffer_load_dword v191, off, s[60:63], 0 offset:868
	s_waitcnt vmcnt(0)
	v_add_f64 v[212:213], v[190:191], -v[212:213]
	s_clause 0x1
	buffer_load_dword v190, off, s[60:63], 0 offset:824
	buffer_load_dword v191, off, s[60:63], 0 offset:828
	buffer_store_dword v44, off, s[60:63], 0 offset:984 ; 4-byte Folded Spill
	buffer_store_dword v45, off, s[60:63], 0 offset:988 ; 4-byte Folded Spill
	;; [unrolled: 1-line block ×4, first 2 shown]
	v_add_f64 v[8:9], v[152:153], v[218:219]
	v_add_f64 v[44:45], v[152:153], v[216:217]
	buffer_store_dword v8, off, s[60:63], 0 offset:1112 ; 4-byte Folded Spill
	buffer_store_dword v9, off, s[60:63], 0 offset:1116 ; 4-byte Folded Spill
	v_add_f64 v[8:9], v[152:153], v[224:225]
	v_mov_b32_e32 v227, v187
	v_mov_b32_e32 v226, v186
	;; [unrolled: 1-line block ×7, first 2 shown]
	buffer_store_dword v8, off, s[60:63], 0 offset:1096 ; 4-byte Folded Spill
	buffer_store_dword v9, off, s[60:63], 0 offset:1100 ; 4-byte Folded Spill
	buffer_store_dword v76, off, s[60:63], 0 offset:992 ; 4-byte Folded Spill
	buffer_store_dword v77, off, s[60:63], 0 offset:996 ; 4-byte Folded Spill
	v_add_f64 v[8:9], v[154:155], v[58:59]
	v_add_f64 v[58:59], v[176:177], v[180:181]
	v_mul_f64 v[176:177], v[10:11], s[50:51]
	v_mul_f64 v[180:181], v[16:17], s[40:41]
	v_mov_b32_e32 v186, v26
	buffer_store_dword v8, off, s[60:63], 0 offset:1104 ; 4-byte Folded Spill
	buffer_store_dword v9, off, s[60:63], 0 offset:1108 ; 4-byte Folded Spill
	v_add_f64 v[8:9], v[152:153], v[56:57]
	v_add_f64 v[56:57], v[178:179], v[6:7]
	v_mul_f64 v[178:179], v[112:113], s[40:41]
	buffer_store_dword v8, off, s[60:63], 0 offset:1064 ; 4-byte Folded Spill
	buffer_store_dword v9, off, s[60:63], 0 offset:1068 ; 4-byte Folded Spill
	v_add_f64 v[8:9], v[154:155], v[198:199]
	buffer_store_dword v8, off, s[60:63], 0 offset:1072 ; 4-byte Folded Spill
	buffer_store_dword v9, off, s[60:63], 0 offset:1076 ; 4-byte Folded Spill
	;; [unrolled: 1-line block ×8, first 2 shown]
	v_add_f64 v[8:9], v[152:153], v[202:203]
	v_mov_b32_e32 v173, v23
	v_mov_b32_e32 v172, v22
	;; [unrolled: 1-line block ×6, first 2 shown]
	v_mul_f64 v[82:83], v[46:47], s[50:51]
	buffer_store_dword v8, off, s[60:63], 0 offset:1080 ; 4-byte Folded Spill
	buffer_store_dword v9, off, s[60:63], 0 offset:1084 ; 4-byte Folded Spill
	v_add_f64 v[8:9], v[154:155], v[204:205]
	v_mov_b32_e32 v205, v171
	v_mov_b32_e32 v204, v170
	;; [unrolled: 1-line block ×4, first 2 shown]
	buffer_store_dword v8, off, s[60:63], 0 offset:1088 ; 4-byte Folded Spill
	buffer_store_dword v9, off, s[60:63], 0 offset:1092 ; 4-byte Folded Spill
	;; [unrolled: 1-line block ×6, first 2 shown]
	v_add_f64 v[8:9], v[152:153], v[206:207]
	v_add_f64 v[114:115], v[154:155], v[64:65]
	v_mul_f64 v[64:65], v[84:85], s[50:51]
	v_mov_b32_e32 v116, v243
	v_mov_b32_e32 v117, v244
	;; [unrolled: 1-line block ×4, first 2 shown]
	buffer_store_dword v8, off, s[60:63], 0 offset:1040 ; 4-byte Folded Spill
	buffer_store_dword v9, off, s[60:63], 0 offset:1044 ; 4-byte Folded Spill
	v_add_f64 v[8:9], v[154:155], v[208:209]
	v_fma_f64 v[6:7], v[2:3], s[16:17], v[64:65]
	v_mov_b32_e32 v209, v81
	v_mov_b32_e32 v208, v80
	v_mul_f64 v[80:81], v[112:113], s[48:49]
	buffer_store_dword v8, off, s[60:63], 0 offset:1032 ; 4-byte Folded Spill
	buffer_store_dword v9, off, s[60:63], 0 offset:1036 ; 4-byte Folded Spill
	v_add_f64 v[8:9], v[152:153], v[210:211]
	v_add_f64 v[6:7], v[6:7], v[192:193]
	v_mul_f64 v[192:193], v[46:47], s[52:53]
	v_mul_f64 v[210:211], v[84:85], s[44:45]
	buffer_store_dword v8, off, s[60:63], 0 offset:1024 ; 4-byte Folded Spill
	buffer_store_dword v9, off, s[60:63], 0 offset:1028 ; 4-byte Folded Spill
	v_add_f64 v[8:9], v[154:155], v[212:213]
	v_mov_b32_e32 v155, v71
	v_mov_b32_e32 v154, v70
	;; [unrolled: 1-line block ×4, first 2 shown]
	v_mul_f64 v[212:213], v[68:69], s[26:27]
	buffer_store_dword v8, off, s[60:63], 0 offset:1016 ; 4-byte Folded Spill
	buffer_store_dword v9, off, s[60:63], 0 offset:1020 ; 4-byte Folded Spill
	s_waitcnt vmcnt(0)
	v_add_f64 v[214:215], v[214:215], v[190:191]
	v_mov_b32_e32 v191, v51
	v_mov_b32_e32 v190, v50
	v_add_f64 v[8:9], v[152:153], v[214:215]
	v_mul_f64 v[214:215], v[62:63], s[42:43]
	buffer_store_dword v8, off, s[60:63], 0 offset:1008 ; 4-byte Folded Spill
	buffer_store_dword v9, off, s[60:63], 0 offset:1012 ; 4-byte Folded Spill
	v_add_f64 v[8:9], v[152:153], v[54:55]
	v_fma_f64 v[54:55], v[241:242], s[16:17], -v[176:177]
	v_fma_f64 v[152:153], v[52:53], s[38:39], v[178:179]
	v_fma_f64 v[176:177], v[241:242], s[16:17], v[176:177]
	buffer_store_dword v8, off, s[60:63], 0 offset:1000 ; 4-byte Folded Spill
	buffer_store_dword v9, off, s[60:63], 0 offset:1004 ; 4-byte Folded Spill
	v_add_f64 v[54:55], v[54:55], v[220:221]
	v_add_f64 v[6:7], v[152:153], v[6:7]
	v_fma_f64 v[152:153], v[247:248], s[38:39], -v[180:181]
	v_mul_f64 v[220:221], v[24:25], s[52:53]
	v_mul_f64 v[8:9], v[78:79], s[30:31]
	buffer_store_dword v166, off, s[60:63], 0 offset:1056 ; 4-byte Folded Spill
	buffer_store_dword v167, off, s[60:63], 0 offset:1060 ; 4-byte Folded Spill
	;; [unrolled: 1-line block ×6, first 2 shown]
	v_mul_f64 v[12:13], v[48:49], s[20:21]
	buffer_store_dword v40, off, s[60:63], 0 offset:1048 ; 4-byte Folded Spill
	buffer_store_dword v41, off, s[60:63], 0 offset:1052 ; 4-byte Folded Spill
	v_mov_b32_e32 v166, v188
	v_mov_b32_e32 v167, v189
	;; [unrolled: 1-line block ×6, first 2 shown]
	v_add_f64 v[176:177], v[176:177], v[44:45]
	v_add_f64 v[54:55], v[152:153], v[54:55]
	v_fma_f64 v[152:153], v[60:61], s[22:23], v[192:193]
	v_fma_f64 v[10:11], v[66:67], s[2:3], -v[8:9]
	v_fma_f64 v[8:9], v[66:67], s[2:3], v[8:9]
	v_add_f64 v[6:7], v[152:153], v[6:7]
	v_fma_f64 v[152:153], v[249:250], s[22:23], -v[220:221]
	v_add_f64 v[54:55], v[152:153], v[54:55]
	v_fma_f64 v[152:153], v[148:149], s[34:35], v[234:235]
	v_add_f64 v[6:7], v[152:153], v[6:7]
	v_fma_f64 v[152:153], v[62:63], s[34:35], -v[236:237]
	v_add_f64 v[54:55], v[152:153], v[54:55]
	v_fma_f64 v[152:153], v[150:151], s[2:3], v[238:239]
	v_fma_f64 v[238:239], v[150:151], s[2:3], -v[238:239]
	v_add_f64 v[10:11], v[10:11], v[54:55]
	v_mul_f64 v[54:55], v[142:143], s[20:21]
	v_add_f64 v[6:7], v[152:153], v[6:7]
	v_fma_f64 v[152:153], v[4:5], s[18:19], v[54:55]
	v_fma_f64 v[54:55], v[4:5], s[18:19], -v[54:55]
	v_add_f64 v[152:153], v[152:153], v[6:7]
	v_fma_f64 v[6:7], v[72:73], s[18:19], -v[12:13]
	v_add_f64 v[14:15], v[6:7], v[10:11]
	v_mul_f64 v[6:7], v[20:21], s[58:59]
	buffer_store_dword v6, off, s[60:63], 0 offset:912 ; 4-byte Folded Spill
	buffer_store_dword v7, off, s[60:63], 0 offset:916 ; 4-byte Folded Spill
	v_fma_f64 v[10:11], v[42:43], s[8:9], v[228:229]
	v_mov_b32_e32 v42, v78
	v_mov_b32_e32 v43, v79
	v_mul_f64 v[78:79], v[142:143], s[44:45]
	v_add_f64 v[32:33], v[10:11], v[152:153]
	v_fma_f64 v[152:153], v[0:1], s[8:9], -v[6:7]
	v_add_f64 v[6:7], v[162:163], v[56:57]
	v_mul_f64 v[56:57], v[46:47], s[26:27]
	v_add_f64 v[30:31], v[152:153], v[14:15]
	buffer_store_dword v30, off, s[60:63], 0 offset:896 ; 4-byte Folded Spill
	buffer_store_dword v31, off, s[60:63], 0 offset:900 ; 4-byte Folded Spill
	;; [unrolled: 1-line block ×6, first 2 shown]
	v_add_f64 v[6:7], v[160:161], v[58:59]
	v_fma_f64 v[14:15], v[148:149], s[34:35], -v[234:235]
	v_mul_f64 v[160:161], v[68:69], s[10:11]
	v_mul_f64 v[234:235], v[68:69], s[58:59]
	buffer_store_dword v6, off, s[60:63], 0 offset:952 ; 4-byte Folded Spill
	buffer_store_dword v7, off, s[60:63], 0 offset:956 ; 4-byte Folded Spill
	;; [unrolled: 1-line block ×4, first 2 shown]
	v_fma_f64 v[162:163], v[148:149], s[16:17], v[160:161]
	v_fma_f64 v[160:161], v[148:149], s[16:17], -v[160:161]
	v_fma_f64 v[168:169], v[148:149], s[8:9], v[234:235]
	v_fma_f64 v[18:19], v[148:149], s[8:9], -v[234:235]
	v_fma_f64 v[148:149], v[60:61], s[22:23], -v[192:193]
	v_mul_f64 v[192:193], v[46:47], s[56:57]
	v_mul_f64 v[20:21], v[46:47], s[40:41]
	;; [unrolled: 1-line block ×3, first 2 shown]
	v_mov_b32_e32 v153, v49
	v_mov_b32_e32 v152, v48
	v_mul_f64 v[58:59], v[112:113], s[52:53]
	v_fma_f64 v[234:235], v[60:61], s[34:35], v[192:193]
	v_fma_f64 v[192:193], v[60:61], s[34:35], -v[192:193]
	v_fma_f64 v[22:23], v[60:61], s[38:39], v[20:21]
	v_fma_f64 v[20:21], v[60:61], s[38:39], -v[20:21]
	v_fma_f64 v[60:61], v[52:53], s[38:39], -v[178:179]
	v_mul_f64 v[178:179], v[112:113], s[28:29]
	v_fma_f64 v[34:35], v[2:3], s[18:19], v[32:33]
	v_fma_f64 v[32:33], v[2:3], s[18:19], -v[32:33]
	v_fma_f64 v[24:25], v[52:53], s[8:9], v[178:179]
	v_fma_f64 v[26:27], v[52:53], s[8:9], -v[178:179]
	v_mul_f64 v[178:179], v[112:113], s[10:11]
	v_add_f64 v[34:35], v[34:35], v[200:201]
	v_fma_f64 v[28:29], v[52:53], s[16:17], v[178:179]
	v_fma_f64 v[30:31], v[52:53], s[16:17], -v[178:179]
	v_fma_f64 v[52:53], v[2:3], s[16:17], -v[64:65]
	v_mul_f64 v[64:65], v[84:85], s[30:31]
	v_add_f64 v[28:29], v[28:29], v[34:35]
	v_mul_f64 v[34:35], v[16:17], s[10:11]
	v_add_f64 v[52:53], v[52:53], v[182:183]
	v_fma_f64 v[178:179], v[2:3], s[2:3], v[64:65]
	v_fma_f64 v[64:65], v[2:3], s[2:3], -v[64:65]
	v_mul_f64 v[2:3], v[140:141], s[44:45]
	v_mul_f64 v[182:183], v[243:244], s[30:31]
	v_add_f64 v[22:23], v[22:23], v[28:29]
	v_mul_f64 v[28:29], v[184:185], s[40:41]
	v_add_f64 v[52:53], v[60:61], v[52:53]
	v_add_f64 v[178:179], v[178:179], v[196:197]
	;; [unrolled: 1-line block ×3, first 2 shown]
	v_fma_f64 v[36:37], v[150:151], s[42:43], v[2:3]
	v_fma_f64 v[146:147], v[150:151], s[42:43], -v[2:3]
	v_mul_f64 v[2:3], v[140:141], s[24:25]
	v_fma_f64 v[196:197], v[241:242], s[2:3], -v[182:183]
	v_fma_f64 v[182:183], v[241:242], s[2:3], v[182:183]
	v_mul_f64 v[194:195], v[243:244], s[48:49]
	v_fma_f64 v[60:61], v[247:248], s[38:39], v[180:181]
	v_add_f64 v[52:53], v[148:149], v[52:53]
	v_add_f64 v[24:25], v[24:25], v[178:179]
	;; [unrolled: 1-line block ×3, first 2 shown]
	v_fma_f64 v[48:49], v[150:151], s[22:23], v[2:3]
	v_fma_f64 v[50:51], v[150:151], s[22:23], -v[2:3]
	v_mul_f64 v[2:3], v[142:143], s[52:53]
	v_fma_f64 v[200:201], v[241:242], s[18:19], -v[194:195]
	v_fma_f64 v[194:195], v[241:242], s[18:19], v[194:195]
	v_add_f64 v[60:61], v[60:61], v[176:177]
	v_mul_f64 v[176:177], v[16:17], s[28:29]
	v_add_f64 v[16:17], v[168:169], v[22:23]
	v_mul_f64 v[22:23], v[38:39], s[58:59]
	v_mov_b32_e32 v168, v202
	v_mov_b32_e32 v169, v203
	;; [unrolled: 1-line block ×4, first 2 shown]
	v_add_f64 v[24:25], v[234:235], v[24:25]
	v_add_f64 v[26:27], v[192:193], v[26:27]
	v_fma_f64 v[150:151], v[4:5], s[22:23], v[2:3]
	v_fma_f64 v[76:77], v[4:5], s[22:23], -v[2:3]
	v_fma_f64 v[2:3], v[4:5], s[42:43], v[78:79]
	buffer_store_dword v2, off, s[60:63], 0 offset:968 ; 4-byte Folded Spill
	buffer_store_dword v3, off, s[60:63], 0 offset:972 ; 4-byte Folded Spill
	s_clause 0x3
	buffer_load_dword v2, off, s[60:63], 0 offset:888
	buffer_load_dword v3, off, s[60:63], 0 offset:892
	buffer_load_dword v6, off, s[60:63], 0 offset:816
	buffer_load_dword v7, off, s[60:63], 0 offset:820
	v_fma_f64 v[78:79], v[4:5], s[42:43], -v[78:79]
	v_mul_f64 v[4:5], v[140:141], s[58:59]
	v_fma_f64 v[178:179], v[247:248], s[8:9], -v[176:177]
	v_fma_f64 v[64:65], v[247:248], s[8:9], v[176:177]
	v_fma_f64 v[176:177], v[247:248], s[16:17], -v[34:35]
	v_add_f64 v[24:25], v[162:163], v[24:25]
	v_add_f64 v[26:27], v[160:161], v[26:27]
	;; [unrolled: 1-line block ×4, first 2 shown]
	v_mul_f64 v[26:27], v[46:47], s[48:49]
	s_waitcnt vmcnt(2)
	v_add_f64 v[2:3], v[2:3], -v[4:5]
	v_mul_f64 v[4:5], v[84:85], s[46:47]
	s_waitcnt vmcnt(0)
	v_add_f64 v[4:5], v[6:7], -v[4:5]
	s_clause 0x1
	buffer_load_dword v6, off, s[60:63], 0 offset:848
	buffer_load_dword v7, off, s[60:63], 0 offset:852
	s_waitcnt vmcnt(0)
	v_add_f64 v[58:59], v[6:7], -v[58:59]
	s_clause 0x5
	buffer_load_dword v6, off, s[60:63], 0 offset:856
	buffer_load_dword v7, off, s[60:63], 0 offset:860
	;; [unrolled: 1-line block ×6, first 2 shown]
	s_waitcnt vmcnt(4)
	v_add_f64 v[56:57], v[6:7], -v[56:57]
	v_mul_f64 v[6:7], v[68:69], s[44:45]
	s_waitcnt vmcnt(2)
	v_add_f64 v[6:7], v[10:11], -v[6:7]
	v_mul_f64 v[10:11], v[241:242], s[38:39]
	s_waitcnt vmcnt(0)
	v_add_f64 v[10:11], v[10:11], v[40:41]
	s_clause 0x1
	buffer_load_dword v40, off, s[60:63], 0 offset:800
	buffer_load_dword v41, off, s[60:63], 0 offset:804
	s_waitcnt vmcnt(0)
	v_add_f64 v[232:233], v[232:233], v[40:41]
	s_clause 0x1
	buffer_load_dword v40, off, s[60:63], 0 offset:808
	buffer_load_dword v41, off, s[60:63], 0 offset:812
	;; [unrolled: 5-line block ×4, first 2 shown]
	s_waitcnt vmcnt(0)
	v_add_f64 v[212:213], v[40:41], -v[212:213]
	s_clause 0x1
	buffer_load_dword v40, off, s[60:63], 0 offset:760
	buffer_load_dword v41, off, s[60:63], 0 offset:764
	s_waitcnt vmcnt(0)
	v_add_f64 v[210:211], v[40:41], -v[210:211]
	s_clause 0x1
	buffer_load_dword v40, off, s[60:63], 0 offset:768
	buffer_load_dword v41, off, s[60:63], 0 offset:772
	s_waitcnt vmcnt(0)
	v_add_f64 v[80:81], v[40:41], -v[80:81]
	s_clause 0xb
	buffer_load_dword v40, off, s[60:63], 0 offset:776
	buffer_load_dword v41, off, s[60:63], 0 offset:780
	buffer_load_dword v216, off, s[60:63], 0 offset:520
	buffer_load_dword v217, off, s[60:63], 0 offset:524
	;; [unrolled: 1-line block ×10, first 2 shown]
	s_waitcnt vmcnt(10)
	v_add_f64 v[82:83], v[40:41], -v[82:83]
	v_mov_b32_e32 v40, v156
	v_mov_b32_e32 v41, v157
	;; [unrolled: 1-line block ×3, first 2 shown]
	s_waitcnt vmcnt(0)
	v_add_f64 v[196:197], v[196:197], v[44:45]
	s_clause 0x1
	buffer_load_dword v44, off, s[60:63], 0 offset:1112
	buffer_load_dword v45, off, s[60:63], 0 offset:1116
	v_mov_b32_e32 v156, v84
	v_mul_f64 v[84:85], v[241:242], s[42:43]
	v_add_f64 v[178:179], v[178:179], v[196:197]
	v_add_f64 v[84:85], v[84:85], v[206:207]
	v_mov_b32_e32 v207, v87
	v_mov_b32_e32 v206, v86
	v_mul_f64 v[86:87], v[247:248], s[18:19]
	v_add_f64 v[86:87], v[86:87], v[198:199]
	s_waitcnt vmcnt(0)
	v_add_f64 v[182:183], v[182:183], v[44:45]
	s_clause 0x1
	buffer_load_dword v44, off, s[60:63], 0 offset:1096
	buffer_load_dword v45, off, s[60:63], 0 offset:1100
	v_add_f64 v[64:65], v[64:65], v[182:183]
	s_waitcnt vmcnt(0)
	v_add_f64 v[200:201], v[200:201], v[44:45]
	s_clause 0x1
	buffer_load_dword v44, off, s[60:63], 0 offset:1104
	buffer_load_dword v45, off, s[60:63], 0 offset:1108
	;; [unrolled: 6-line block ×3, first 2 shown]
	v_add_f64 v[30:31], v[30:31], v[32:33]
	v_fma_f64 v[32:33], v[247:248], s[16:17], v[34:35]
	v_add_f64 v[20:21], v[20:21], v[30:31]
	v_add_f64 v[18:19], v[18:19], v[20:21]
	v_fma_f64 v[20:21], v[62:63], s[8:9], v[22:23]
	s_waitcnt vmcnt(0)
	v_add_f64 v[194:195], v[194:195], v[44:45]
	s_clause 0x1
	buffer_load_dword v44, off, s[60:63], 0 offset:1072
	buffer_load_dword v45, off, s[60:63], 0 offset:1076
	v_add_f64 v[32:33], v[32:33], v[194:195]
	s_waitcnt vmcnt(0)
	v_add_f64 v[4:5], v[4:5], v[44:45]
	s_clause 0x1
	buffer_load_dword v44, off, s[60:63], 0 offset:1080
	buffer_load_dword v45, off, s[60:63], 0 offset:1084
	v_add_f64 v[4:5], v[58:59], v[4:5]
	v_fma_f64 v[58:59], v[249:250], s[22:23], v[220:221]
	v_add_f64 v[30:31], v[56:57], v[4:5]
	v_add_f64 v[58:59], v[58:59], v[60:61]
	v_mul_f64 v[60:61], v[184:185], s[56:57]
	v_add_f64 v[4:5], v[14:15], v[52:53]
	v_fma_f64 v[14:15], v[62:63], s[34:35], v[236:237]
	v_fma_f64 v[56:57], v[62:63], s[8:9], -v[22:23]
	v_mul_f64 v[22:23], v[42:43], s[44:45]
	v_add_f64 v[6:7], v[6:7], v[30:31]
	v_add_f64 v[4:5], v[238:239], v[4:5]
	;; [unrolled: 1-line block ×3, first 2 shown]
	v_mul_f64 v[58:59], v[140:141], s[36:37]
	v_add_f64 v[2:3], v[2:3], v[6:7]
	v_mul_f64 v[6:7], v[72:73], s[16:17]
	v_add_f64 v[8:9], v[8:9], v[14:15]
	v_add_f64 v[14:15], v[36:37], v[24:25]
	v_fma_f64 v[24:25], v[66:67], s[42:43], -v[22:23]
	v_fma_f64 v[22:23], v[66:67], s[42:43], v[22:23]
	v_add_f64 v[146:147], v[150:151], v[14:15]
	s_waitcnt vmcnt(0)
	v_add_f64 v[10:11], v[10:11], v[44:45]
	s_clause 0x1
	buffer_load_dword v44, off, s[60:63], 0 offset:1088
	buffer_load_dword v45, off, s[60:63], 0 offset:1092
	v_add_f64 v[10:11], v[232:233], v[10:11]
	v_add_f64 v[10:11], v[230:231], v[10:11]
	;; [unrolled: 1-line block ×3, first 2 shown]
	s_waitcnt vmcnt(0)
	v_add_f64 v[198:199], v[210:211], v[44:45]
	v_fma_f64 v[44:45], v[249:250], s[38:39], -v[28:29]
	v_fma_f64 v[28:29], v[249:250], s[38:39], v[28:29]
	v_add_f64 v[34:35], v[80:81], v[198:199]
	v_fma_f64 v[80:81], v[249:250], s[34:35], -v[60:61]
	v_add_f64 v[28:29], v[28:29], v[32:33]
	v_fma_f64 v[60:61], v[249:250], s[34:35], v[60:61]
	v_add_f64 v[44:45], v[44:45], v[176:177]
	v_add_f64 v[32:33], v[82:83], v[34:35]
	v_mul_f64 v[34:35], v[38:39], s[10:11]
	v_add_f64 v[80:81], v[80:81], v[178:179]
	v_add_f64 v[60:61], v[60:61], v[64:65]
	;; [unrolled: 1-line block ×3, first 2 shown]
	v_fma_f64 v[4:5], v[72:73], s[18:19], v[12:13]
	v_add_f64 v[44:45], v[56:57], v[44:45]
	v_add_f64 v[20:21], v[20:21], v[28:29]
	v_mul_f64 v[12:13], v[156:157], s[36:37]
	v_mul_f64 v[54:55], v[249:250], s[18:19]
	;; [unrolled: 1-line block ×4, first 2 shown]
	v_add_f64 v[32:33], v[212:213], v[32:33]
	v_fma_f64 v[52:53], v[62:63], s[16:17], -v[34:35]
	v_fma_f64 v[34:35], v[62:63], s[16:17], v[34:35]
	v_add_f64 v[180:181], v[4:5], v[8:9]
	v_mul_f64 v[8:9], v[152:153], s[52:53]
	v_add_f64 v[46:47], v[186:187], -v[46:47]
	v_mov_b32_e32 v184, v224
	v_mov_b32_e32 v185, v225
	;; [unrolled: 1-line block ×4, first 2 shown]
	v_add_f64 v[52:53], v[52:53], v[80:81]
	v_add_f64 v[34:35], v[34:35], v[60:61]
	v_fma_f64 v[4:5], v[72:73], s[22:23], -v[8:9]
	v_fma_f64 v[8:9], v[72:73], s[22:23], v[8:9]
	v_add_f64 v[24:25], v[24:25], v[52:53]
	v_add_f64 v[52:53], v[48:49], v[16:17]
	;; [unrolled: 1-line block ×3, first 2 shown]
	v_mul_f64 v[18:19], v[42:43], s[24:25]
	v_add_f64 v[22:23], v[22:23], v[34:35]
	v_mul_f64 v[34:35], v[156:157], s[24:25]
	v_mul_f64 v[50:51], v[112:113], s[26:27]
	;; [unrolled: 1-line block ×3, first 2 shown]
	v_add_f64 v[4:5], v[4:5], v[24:25]
	v_add_f64 v[150:151], v[78:79], v[16:17]
	v_fma_f64 v[28:29], v[66:67], s[22:23], -v[18:19]
	v_fma_f64 v[18:19], v[66:67], s[22:23], v[18:19]
	v_add_f64 v[48:49], v[48:49], v[164:165]
	v_add_f64 v[60:61], v[28:29], v[44:45]
	;; [unrolled: 1-line block ×3, first 2 shown]
	s_clause 0x5
	buffer_load_dword v8, off, s[60:63], 0 offset:1040
	buffer_load_dword v9, off, s[60:63], 0 offset:1044
	;; [unrolled: 1-line block ×6, first 2 shown]
	v_add_f64 v[160:161], v[18:19], v[20:21]
	s_clause 0x3
	buffer_load_dword v18, off, s[60:63], 0 offset:728
	buffer_load_dword v19, off, s[60:63], 0 offset:732
	;; [unrolled: 1-line block ×4, first 2 shown]
	s_waitcnt vmcnt(8)
	v_add_f64 v[8:9], v[84:85], v[8:9]
	s_waitcnt vmcnt(6)
	v_add_f64 v[12:13], v[14:15], -v[12:13]
	v_mul_f64 v[14:15], v[62:63], s[2:3]
	v_add_f64 v[8:9], v[86:87], v[8:9]
	s_waitcnt vmcnt(4)
	v_add_f64 v[14:15], v[14:15], v[16:17]
	v_mul_f64 v[16:17], v[249:250], s[16:17]
	s_waitcnt vmcnt(2)
	v_add_f64 v[16:17], v[16:17], v[18:19]
	v_mul_f64 v[18:19], v[112:113], s[54:55]
	v_add_f64 v[8:9], v[16:17], v[8:9]
	s_waitcnt vmcnt(0)
	v_add_f64 v[18:19], v[20:21], -v[18:19]
	s_clause 0x9
	buffer_load_dword v20, off, s[60:63], 0 offset:1032
	buffer_load_dword v21, off, s[60:63], 0 offset:1036
	;; [unrolled: 1-line block ×10, first 2 shown]
	v_mul_f64 v[16:17], v[66:67], s[8:9]
	v_add_f64 v[8:9], v[14:15], v[8:9]
	v_mul_f64 v[14:15], v[142:143], s[10:11]
	s_waitcnt vmcnt(8)
	v_add_f64 v[12:13], v[12:13], v[20:21]
	v_mul_f64 v[20:21], v[241:242], s[34:35]
	s_waitcnt vmcnt(2)
	v_add_f64 v[26:27], v[28:29], -v[26:27]
	s_waitcnt vmcnt(0)
	v_add_f64 v[34:35], v[36:37], -v[34:35]
	s_clause 0x1
	buffer_load_dword v36, off, s[60:63], 0 offset:600
	buffer_load_dword v37, off, s[60:63], 0 offset:604
	v_mul_f64 v[28:29], v[241:242], s[8:9]
	v_add_f64 v[12:13], v[18:19], v[12:13]
	v_mul_f64 v[18:19], v[247:248], s[42:43]
	v_add_f64 v[20:21], v[20:21], v[22:23]
	;; [unrolled: 2-line block ×3, first 2 shown]
	v_add_f64 v[28:29], v[28:29], v[116:117]
	v_add_f64 v[12:13], v[26:27], v[12:13]
	v_mul_f64 v[26:27], v[62:63], s[22:23]
	v_add_f64 v[22:23], v[24:25], -v[22:23]
	v_mul_f64 v[24:25], v[156:157], s[28:29]
	v_add_f64 v[12:13], v[22:23], v[12:13]
	v_add_f64 v[24:25], v[253:254], -v[24:25]
	v_mul_f64 v[22:23], v[66:67], s[16:17]
	s_waitcnt vmcnt(0)
	v_add_f64 v[18:19], v[18:19], v[36:37]
	s_clause 0x9
	buffer_load_dword v36, off, s[60:63], 0 offset:1024
	buffer_load_dword v37, off, s[60:63], 0 offset:1028
	;; [unrolled: 1-line block ×10, first 2 shown]
	s_waitcnt vmcnt(8)
	v_add_f64 v[20:21], v[20:21], v[36:37]
	v_mul_f64 v[36:37], v[241:242], s[22:23]
	s_waitcnt vmcnt(0)
	v_add_f64 v[24:25], v[24:25], v[42:43]
	s_clause 0x1
	buffer_load_dword v42, off, s[60:63], 0 offset:1008
	buffer_load_dword v43, off, s[60:63], 0 offset:1012
	v_add_f64 v[18:19], v[18:19], v[20:21]
	v_mul_f64 v[20:21], v[247:248], s[2:3]
	v_add_f64 v[36:37], v[36:37], v[38:39]
	v_mul_f64 v[38:39], v[112:113], s[36:37]
	v_add_f64 v[38:39], v[245:246], -v[38:39]
	v_add_f64 v[24:25], v[38:39], v[24:25]
	v_mul_f64 v[38:39], v[249:250], s[42:43]
	v_add_f64 v[38:39], v[38:39], v[174:175]
	s_waitcnt vmcnt(0)
	v_add_f64 v[28:29], v[28:29], v[42:43]
	s_clause 0x1
	buffer_load_dword v42, off, s[60:63], 0 offset:928
	buffer_load_dword v43, off, s[60:63], 0 offset:932
	v_add_f64 v[28:29], v[48:49], v[28:29]
	v_mul_f64 v[48:49], v[249:250], s[8:9]
	v_add_f64 v[28:29], v[38:39], v[28:29]
	v_add_f64 v[48:49], v[48:49], v[172:173]
	v_mul_f64 v[38:39], v[68:69], s[20:21]
	v_add_f64 v[38:39], v[74:75], -v[38:39]
	s_waitcnt vmcnt(0)
	v_add_f64 v[50:51], v[42:43], -v[50:51]
	s_clause 0x1
	buffer_load_dword v42, off, s[60:63], 0 offset:592
	buffer_load_dword v43, off, s[60:63], 0 offset:596
	v_add_f64 v[34:35], v[50:51], v[34:35]
	v_mul_f64 v[50:51], v[62:63], s[38:39]
	v_add_f64 v[34:35], v[46:47], v[34:35]
	v_mul_f64 v[46:47], v[62:63], s[18:19]
	;; [unrolled: 2-line block ×3, first 2 shown]
	v_add_f64 v[34:35], v[38:39], v[34:35]
	v_add_f64 v[46:47], v[46:47], v[188:189]
	;; [unrolled: 1-line block ×3, first 2 shown]
	v_mul_f64 v[50:51], v[72:73], s[8:9]
	v_mul_f64 v[38:39], v[66:67], s[34:35]
	v_add_f64 v[62:63], v[154:155], -v[62:63]
	v_add_f64 v[38:39], v[38:39], v[70:71]
	s_waitcnt vmcnt(0)
	v_add_f64 v[54:55], v[54:55], v[42:43]
	s_clause 0x1
	buffer_load_dword v42, off, s[60:63], 0 offset:1136
	buffer_load_dword v43, off, s[60:63], 0 offset:1140
	v_add_f64 v[18:19], v[54:55], v[18:19]
	v_mul_f64 v[54:55], v[140:141], s[10:11]
	s_waitcnt vmcnt(0)
	v_add_f64 v[20:21], v[20:21], v[42:43]
	s_clause 0x5
	buffer_load_dword v114, off, s[60:63], 0 offset:824
	buffer_load_dword v115, off, s[60:63], 0 offset:828
	;; [unrolled: 1-line block ×6, first 2 shown]
	s_waitcnt vmcnt(0)
	v_add_f64 v[36:37], v[36:37], v[42:43]
	s_clause 0x1
	buffer_load_dword v42, off, s[60:63], 0 offset:1128
	buffer_load_dword v43, off, s[60:63], 0 offset:1132
	v_add_f64 v[20:21], v[20:21], v[36:37]
	v_mul_f64 v[36:37], v[68:69], s[46:47]
	v_mul_f64 v[68:69], v[72:73], s[38:39]
	v_add_f64 v[20:21], v[48:49], v[20:21]
	v_mul_f64 v[48:49], v[66:67], s[38:39]
	v_add_f64 v[36:37], v[118:119], -v[36:37]
	v_add_f64 v[20:21], v[46:47], v[20:21]
	v_mul_f64 v[46:47], v[142:143], s[28:29]
	v_add_f64 v[20:21], v[38:39], v[20:21]
	s_waitcnt vmcnt(0)
	v_add_f64 v[56:57], v[42:43], -v[56:57]
	s_clause 0x7
	buffer_load_dword v42, off, s[60:63], 0 offset:584
	buffer_load_dword v43, off, s[60:63], 0 offset:588
	;; [unrolled: 1-line block ×8, first 2 shown]
	v_add_f64 v[24:25], v[56:57], v[24:25]
	v_mul_f64 v[56:57], v[140:141], s[48:49]
	v_add_f64 v[24:25], v[36:37], v[24:25]
	v_add_f64 v[56:57], v[158:159], -v[56:57]
	v_mul_f64 v[36:37], v[66:67], s[18:19]
	v_add_f64 v[24:25], v[56:57], v[24:25]
	v_mul_f64 v[56:57], v[72:73], s[2:3]
	v_add_f64 v[36:37], v[36:37], v[208:209]
	v_add_f64 v[28:29], v[36:37], v[28:29]
	s_waitcnt vmcnt(6)
	v_add_f64 v[26:27], v[26:27], v[42:43]
	s_clause 0x1
	buffer_load_dword v42, off, s[60:63], 0 offset:688
	buffer_load_dword v43, off, s[60:63], 0 offset:692
	s_waitcnt vmcnt(2)
	v_add_f64 v[16:17], v[16:17], v[30:31]
	v_mul_f64 v[30:31], v[140:141], s[40:41]
	v_add_f64 v[18:19], v[26:27], v[18:19]
	v_add_f64 v[10:11], v[16:17], v[10:11]
	v_mul_f64 v[16:17], v[144:145], s[36:37]
	v_add_f64 v[16:17], v[166:167], -v[16:17]
	s_waitcnt vmcnt(0)
	v_add_f64 v[30:31], v[42:43], -v[30:31]
	s_clause 0x1
	buffer_load_dword v42, off, s[60:63], 0 offset:680
	buffer_load_dword v43, off, s[60:63], 0 offset:684
	v_add_f64 v[30:31], v[30:31], v[32:33]
	v_mul_f64 v[32:33], v[72:73], s[34:35]
	s_waitcnt vmcnt(0)
	v_add_f64 v[48:49], v[48:49], v[42:43]
	s_clause 0x1
	buffer_load_dword v42, off, s[60:63], 0 offset:568
	buffer_load_dword v43, off, s[60:63], 0 offset:572
	v_add_f64 v[8:9], v[48:49], v[8:9]
	s_waitcnt vmcnt(0)
	v_add_f64 v[54:55], v[42:43], -v[54:55]
	s_clause 0x1
	buffer_load_dword v42, off, s[60:63], 0 offset:560
	buffer_load_dword v43, off, s[60:63], 0 offset:564
	v_add_f64 v[12:13], v[54:55], v[12:13]
	v_mul_f64 v[54:55], v[142:143], s[30:31]
	s_waitcnt vmcnt(0)
	v_add_f64 v[22:23], v[22:23], v[42:43]
	s_clause 0x3
	buffer_load_dword v42, off, s[60:63], 0 offset:992
	buffer_load_dword v43, off, s[60:63], 0 offset:996
	;; [unrolled: 1-line block ×4, first 2 shown]
	v_add_f64 v[18:19], v[22:23], v[18:19]
	s_waitcnt vmcnt(2)
	v_add_f64 v[58:59], v[42:43], -v[58:59]
	s_waitcnt vmcnt(0)
	v_add_f64 v[14:15], v[26:27], -v[14:15]
	s_clause 0x3
	buffer_load_dword v26, off, s[60:63], 0 offset:704
	buffer_load_dword v27, off, s[60:63], 0 offset:708
	;; [unrolled: 1-line block ×4, first 2 shown]
	v_add_f64 v[34:35], v[58:59], v[34:35]
	v_add_f64 v[14:15], v[14:15], v[2:3]
	v_mul_f64 v[2:3], v[0:1], s[34:35]
	v_mul_f64 v[58:59], v[152:153], s[44:45]
	v_add_f64 v[34:35], v[62:63], v[34:35]
	v_fma_f64 v[66:67], v[72:73], s[42:43], -v[58:59]
	v_fma_f64 v[58:59], v[72:73], s[42:43], v[58:59]
	v_fma_f64 v[72:73], v[251:252], s[8:9], -v[228:229]
	v_add_f64 v[178:179], v[66:67], v[60:61]
	v_add_f64 v[86:87], v[58:59], v[160:161]
	;; [unrolled: 1-line block ×3, first 2 shown]
	s_waitcnt vmcnt(2)
	v_add_f64 v[6:7], v[6:7], v[26:27]
	v_mul_f64 v[26:27], v[142:143], s[56:57]
	v_add_f64 v[10:11], v[6:7], v[10:11]
	s_waitcnt vmcnt(0)
	v_add_f64 v[26:27], v[42:43], -v[26:27]
	s_clause 0x1
	buffer_load_dword v42, off, s[60:63], 0 offset:664
	buffer_load_dword v43, off, s[60:63], 0 offset:668
	v_add_f64 v[26:27], v[26:27], v[30:31]
	s_waitcnt vmcnt(0)
	v_add_f64 v[32:33], v[32:33], v[42:43]
	s_clause 0x1
	buffer_load_dword v42, off, s[60:63], 0 offset:552
	buffer_load_dword v43, off, s[60:63], 0 offset:556
	v_add_f64 v[8:9], v[32:33], v[8:9]
	s_waitcnt vmcnt(0)
	v_add_f64 v[46:47], v[42:43], -v[46:47]
	s_clause 0x1
	buffer_load_dword v42, off, s[60:63], 0 offset:544
	buffer_load_dword v43, off, s[60:63], 0 offset:548
	v_add_f64 v[12:13], v[46:47], v[12:13]
	s_waitcnt vmcnt(0)
	v_add_f64 v[50:51], v[50:51], v[42:43]
	s_clause 0x1
	buffer_load_dword v42, off, s[60:63], 0 offset:1056
	buffer_load_dword v43, off, s[60:63], 0 offset:1060
	v_add_f64 v[18:19], v[50:51], v[18:19]
	s_waitcnt vmcnt(0)
	v_add_f64 v[54:55], v[42:43], -v[54:55]
	s_clause 0x1
	buffer_load_dword v42, off, s[60:63], 0 offset:984
	buffer_load_dword v43, off, s[60:63], 0 offset:988
	v_add_f64 v[24:25], v[54:55], v[24:25]
	v_mul_f64 v[54:55], v[144:145], s[30:31]
	v_fma_f64 v[50:51], v[251:252], s[2:3], -v[54:55]
	v_fma_f64 v[160:161], v[251:252], s[2:3], v[54:55]
	v_add_f64 v[54:55], v[50:51], v[150:151]
	s_waitcnt vmcnt(0)
	v_add_f64 v[56:57], v[56:57], v[42:43]
	s_clause 0x9
	buffer_load_dword v42, off, s[60:63], 0 offset:1048
	buffer_load_dword v43, off, s[60:63], 0 offset:1052
	;; [unrolled: 1-line block ×10, first 2 shown]
	v_add_f64 v[28:29], v[56:57], v[28:29]
	s_waitcnt vmcnt(8)
	v_add_f64 v[68:69], v[68:69], v[42:43]
	s_clause 0x1
	buffer_load_dword v42, off, s[60:63], 0 offset:536
	buffer_load_dword v43, off, s[60:63], 0 offset:540
	s_waitcnt vmcnt(8)
	v_add_f64 v[22:23], v[2:3], v[22:23]
	v_mul_f64 v[2:3], v[144:145], s[52:53]
	v_add_f64 v[20:21], v[68:69], v[20:21]
	v_add_f64 v[58:59], v[22:23], v[10:11]
	s_waitcnt vmcnt(6)
	v_add_f64 v[36:37], v[36:37], -v[2:3]
	v_mul_f64 v[2:3], v[0:1], s[22:23]
	s_waitcnt vmcnt(4)
	v_add_f64 v[30:31], v[2:3], v[30:31]
	v_mul_f64 v[2:3], v[144:145], s[40:41]
	s_waitcnt vmcnt(2)
	v_add_f64 v[38:39], v[38:39], -v[2:3]
	v_mul_f64 v[2:3], v[0:1], s[38:39]
	s_waitcnt vmcnt(0)
	v_add_f64 v[46:47], v[2:3], v[42:43]
	v_mul_f64 v[2:3], v[144:145], s[50:51]
	v_add_f64 v[66:67], v[46:47], v[18:19]
	v_add_f64 v[48:49], v[40:41], -v[2:3]
	s_clause 0x1
	buffer_load_dword v40, off, s[60:63], 0 offset:976
	buffer_load_dword v41, off, s[60:63], 0 offset:980
	v_mul_f64 v[2:3], v[0:1], s[16:17]
	s_waitcnt vmcnt(0)
	v_add_f64 v[74:75], v[2:3], v[40:41]
	s_clause 0x1
	buffer_load_dword v40, off, s[60:63], 0 offset:960
	buffer_load_dword v41, off, s[60:63], 0 offset:964
	v_mul_f64 v[2:3], v[144:145], s[44:45]
	s_clause 0x1
	buffer_load_dword v42, off, s[60:63], 0 offset:912
	buffer_load_dword v43, off, s[60:63], 0 offset:916
	v_add_f64 v[70:71], v[74:75], v[28:29]
	v_add_f64 v[76:77], v[222:223], -v[2:3]
	v_mul_f64 v[2:3], v[0:1], s[42:43]
	v_add_f64 v[142:143], v[76:77], v[34:35]
	v_add_f64 v[62:63], v[2:3], v[190:191]
	v_mul_f64 v[2:3], v[144:145], s[20:21]
	v_add_f64 v[140:141], v[62:63], v[20:21]
	v_fma_f64 v[56:57], v[251:252], s[18:19], v[2:3]
	v_fma_f64 v[80:81], v[251:252], s[18:19], -v[2:3]
	s_clause 0x1
	buffer_load_dword v2, off, s[60:63], 0 offset:968
	buffer_load_dword v3, off, s[60:63], 0 offset:972
	v_add_f64 v[62:63], v[30:31], v[8:9]
	v_mov_b32_e32 v9, 4
	v_add_f64 v[6:7], v[56:57], v[146:147]
	s_waitcnt vmcnt(4)
	v_mul_f64 v[68:69], v[40:41], s[20:21]
	v_mul_f64 v[40:41], v[40:41], s[30:31]
	s_waitcnt vmcnt(2)
	v_fma_f64 v[78:79], v[0:1], s[8:9], v[42:43]
	v_add_f64 v[42:43], v[80:81], v[148:149]
	v_fma_f64 v[32:33], v[0:1], s[18:19], -v[68:69]
	v_fma_f64 v[82:83], v[0:1], s[18:19], v[68:69]
	v_add_f64 v[68:69], v[38:39], v[12:13]
	s_clause 0x1
	buffer_load_dword v12, off, s[60:63], 0 offset:944
	buffer_load_dword v13, off, s[60:63], 0 offset:948
	v_fma_f64 v[84:85], v[0:1], s[2:3], v[40:41]
	v_fma_f64 v[176:177], v[0:1], s[2:3], -v[40:41]
	v_add_f64 v[0:1], v[78:79], v[180:181]
	v_add_f64 v[4:5], v[32:33], v[4:5]
	;; [unrolled: 1-line block ×4, first 2 shown]
	s_waitcnt vmcnt(2)
	v_add_f64 v[162:163], v[2:3], v[52:53]
	v_add_f64 v[2:3], v[72:73], v[64:65]
	;; [unrolled: 1-line block ×6, first 2 shown]
	s_waitcnt vmcnt(0)
	v_add_f64 v[146:147], v[218:219], v[12:13]
	s_clause 0x2
	buffer_load_dword v12, off, s[60:63], 0 offset:952
	buffer_load_dword v13, off, s[60:63], 0 offset:956
	buffer_load_dword v8, off, s[60:63], 0
	s_waitcnt vmcnt(1)
	v_add_f64 v[144:145], v[216:217], v[12:13]
	s_waitcnt vmcnt(0)
	v_mul_lo_u16 v8, v8, 17
	v_lshlrev_b32_sdwa v8, v9, v8 dst_sel:DWORD dst_unused:UNUSED_PAD src0_sel:DWORD src1_sel:WORD_0
	ds_write_b128 v8, v[144:147]
	ds_write_b128 v8, v[140:143] offset:16
	ds_write_b128 v8, v[70:73] offset:32
	;; [unrolled: 1-line block ×8, first 2 shown]
	s_clause 0x3
	buffer_load_dword v0, off, s[60:63], 0 offset:896
	buffer_load_dword v1, off, s[60:63], 0 offset:900
	;; [unrolled: 1-line block ×4, first 2 shown]
	s_waitcnt vmcnt(0)
	ds_write_b128 v8, v[0:3] offset:144
	ds_write_b128 v8, v[4:7] offset:160
	;; [unrolled: 1-line block ×8, first 2 shown]
.LBB0_17:
	s_or_b32 exec_lo, exec_lo, s1
	s_waitcnt lgkmcnt(0)
	s_waitcnt_vscnt null, 0x0
	s_barrier
	buffer_gl0_inv
	ds_read_b128 v[0:3], v240 offset:8160
	ds_read_b128 v[4:7], v240 offset:16320
	;; [unrolled: 1-line block ×10, first 2 shown]
	s_clause 0x1f
	buffer_load_dword v156, off, s[60:63], 0 offset:156
	buffer_load_dword v157, off, s[60:63], 0 offset:160
	;; [unrolled: 1-line block ×32, first 2 shown]
	s_mov_b32 s2, 0xe8584caa
	s_mov_b32 s3, 0xbfebb67a
	;; [unrolled: 1-line block ×4, first 2 shown]
	s_waitcnt vmcnt(28) lgkmcnt(9)
	v_mul_f64 v[8:9], v[158:159], v[2:3]
	v_mul_f64 v[10:11], v[158:159], v[0:1]
	s_clause 0x3
	buffer_load_dword v158, off, s[60:63], 0 offset:172
	buffer_load_dword v159, off, s[60:63], 0 offset:176
	;; [unrolled: 1-line block ×4, first 2 shown]
	s_waitcnt vmcnt(28) lgkmcnt(8)
	v_mul_f64 v[12:13], v[154:155], v[6:7]
	s_waitcnt vmcnt(24) lgkmcnt(7)
	v_mul_f64 v[16:17], v[86:87], v[42:43]
	v_mul_f64 v[14:15], v[154:155], v[4:5]
	;; [unrolled: 1-line block ×3, first 2 shown]
	s_waitcnt vmcnt(20) lgkmcnt(6)
	v_mul_f64 v[20:21], v[82:83], v[46:47]
	v_mul_f64 v[22:23], v[82:83], v[44:45]
	s_waitcnt vmcnt(16) lgkmcnt(5)
	v_mul_f64 v[24:25], v[150:151], v[54:55]
	v_mul_f64 v[26:27], v[150:151], v[52:53]
	;; [unrolled: 3-line block ×3, first 2 shown]
	s_waitcnt vmcnt(8) lgkmcnt(3)
	v_mul_f64 v[32:33], v[182:183], v[62:63]
	s_waitcnt vmcnt(4) lgkmcnt(2)
	v_mul_f64 v[36:37], v[178:179], v[66:67]
	v_mul_f64 v[38:39], v[178:179], v[64:65]
	ds_read_b128 v[140:143], v240
	ds_read_b128 v[144:147], v240 offset:2720
	v_mul_f64 v[34:35], v[182:183], v[60:61]
	s_waitcnt vmcnt(0) lgkmcnt(0)
	s_barrier
	buffer_gl0_inv
	v_fma_f64 v[0:1], v[156:157], v[0:1], v[8:9]
	v_fma_f64 v[2:3], v[156:157], v[2:3], -v[10:11]
	v_fma_f64 v[4:5], v[152:153], v[4:5], v[12:13]
	v_fma_f64 v[8:9], v[84:85], v[40:41], v[16:17]
	v_fma_f64 v[6:7], v[152:153], v[6:7], -v[14:15]
	v_fma_f64 v[10:11], v[84:85], v[42:43], -v[18:19]
	v_fma_f64 v[12:13], v[80:81], v[44:45], v[20:21]
	v_fma_f64 v[14:15], v[80:81], v[46:47], -v[22:23]
	v_fma_f64 v[16:17], v[148:149], v[52:53], v[24:25]
	;; [unrolled: 2-line block ×4, first 2 shown]
	v_fma_f64 v[28:29], v[176:177], v[64:65], v[36:37]
	v_fma_f64 v[30:31], v[176:177], v[66:67], -v[38:39]
	v_fma_f64 v[26:27], v[180:181], v[62:63], -v[34:35]
	v_add_f64 v[36:37], v[140:141], -v[4:5]
	v_add_f64 v[4:5], v[0:1], -v[8:9]
	;; [unrolled: 1-line block ×9, first 2 shown]
	v_fma_f64 v[10:11], v[0:1], 2.0, -v[4:5]
	v_fma_f64 v[22:23], v[2:3], 2.0, -v[6:7]
	v_add_f64 v[0:1], v[36:37], v[6:7]
	v_add_f64 v[2:3], v[38:39], -v[4:5]
	v_fma_f64 v[46:47], v[144:145], 2.0, -v[40:41]
	v_add_f64 v[6:7], v[42:43], -v[16:17]
	v_fma_f64 v[14:15], v[14:15], 2.0, -v[8:9]
	v_add_f64 v[4:5], v[40:41], v[8:9]
	v_fma_f64 v[52:53], v[72:73], 2.0, -v[44:45]
	v_fma_f64 v[12:13], v[12:13], 2.0, -v[16:17]
	;; [unrolled: 1-line block ×3, first 2 shown]
	v_add_f64 v[12:13], v[46:47], -v[12:13]
	v_mul_f64 v[48:49], v[160:161], v[70:71]
	v_mul_f64 v[50:51], v[160:161], v[68:69]
	v_fma_f64 v[32:33], v[158:159], v[68:69], v[48:49]
	v_add_f64 v[48:49], v[74:75], -v[30:31]
	v_fma_f64 v[30:31], v[140:141], 2.0, -v[36:37]
	v_fma_f64 v[34:35], v[158:159], v[70:71], -v[50:51]
	v_fma_f64 v[50:51], v[146:147], 2.0, -v[42:43]
	v_add_f64 v[18:19], v[24:25], -v[32:33]
	v_fma_f64 v[54:55], v[74:75], 2.0, -v[48:49]
	v_add_f64 v[8:9], v[30:31], -v[10:11]
	v_add_f64 v[20:21], v[26:27], -v[34:35]
	v_fma_f64 v[34:35], v[142:143], 2.0, -v[38:39]
	v_add_f64 v[14:15], v[50:51], -v[14:15]
	v_fma_f64 v[24:25], v[24:25], 2.0, -v[18:19]
	v_add_f64 v[18:19], v[48:49], -v[18:19]
	v_fma_f64 v[32:33], v[30:31], 2.0, -v[8:9]
	v_fma_f64 v[30:31], v[42:43], 2.0, -v[6:7]
	v_fma_f64 v[26:27], v[26:27], 2.0, -v[20:21]
	v_add_f64 v[10:11], v[34:35], -v[22:23]
	v_add_f64 v[16:17], v[44:45], v[20:21]
	v_add_f64 v[20:21], v[52:53], -v[24:25]
	v_fma_f64 v[42:43], v[48:49], 2.0, -v[18:19]
	buffer_load_dword v48, off, s[60:63], 0 offset:332 ; 4-byte Folded Reload
	v_fma_f64 v[24:25], v[36:37], 2.0, -v[0:1]
	v_add_f64 v[22:23], v[54:55], -v[26:27]
	v_fma_f64 v[26:27], v[38:39], 2.0, -v[2:3]
	v_fma_f64 v[34:35], v[34:35], 2.0, -v[10:11]
	v_fma_f64 v[36:37], v[46:47], 2.0, -v[12:13]
	v_fma_f64 v[38:39], v[50:51], 2.0, -v[14:15]
	v_fma_f64 v[40:41], v[44:45], 2.0, -v[16:17]
	s_waitcnt vmcnt(0)
	ds_write_b128 v48, v[0:3] offset:816
	ds_write_b128 v48, v[24:27] offset:272
	;; [unrolled: 1-line block ×3, first 2 shown]
	ds_write_b128 v48, v[32:35]
	buffer_load_dword v0, off, s[60:63], 0 offset:324 ; 4-byte Folded Reload
	v_fma_f64 v[44:45], v[52:53], 2.0, -v[20:21]
	v_fma_f64 v[46:47], v[54:55], 2.0, -v[22:23]
	s_waitcnt vmcnt(0)
	ds_write_b128 v0, v[36:39]
	ds_write_b128 v0, v[28:31] offset:272
	ds_write_b128 v0, v[12:15] offset:544
	;; [unrolled: 1-line block ×3, first 2 shown]
	buffer_load_dword v0, off, s[60:63], 0 offset:316 ; 4-byte Folded Reload
	s_waitcnt vmcnt(0)
	ds_write_b128 v0, v[44:47]
	ds_write_b128 v0, v[40:43] offset:272
	ds_write_b128 v0, v[20:23] offset:544
	;; [unrolled: 1-line block ×3, first 2 shown]
	s_waitcnt lgkmcnt(0)
	s_barrier
	buffer_gl0_inv
	ds_read_b128 v[0:3], v240 offset:10880
	ds_read_b128 v[4:7], v240 offset:21760
	;; [unrolled: 1-line block ×8, first 2 shown]
	s_clause 0x3
	buffer_load_dword v64, off, s[60:63], 0 offset:236
	buffer_load_dword v65, off, s[60:63], 0 offset:240
	;; [unrolled: 1-line block ×4, first 2 shown]
	s_waitcnt lgkmcnt(7)
	v_mul_f64 v[32:33], v[94:95], v[2:3]
	v_mul_f64 v[34:35], v[94:95], v[0:1]
	s_waitcnt lgkmcnt(5)
	v_mul_f64 v[42:43], v[98:99], v[8:9]
	v_mul_f64 v[40:41], v[98:99], v[10:11]
	s_waitcnt lgkmcnt(3)
	v_mul_f64 v[48:49], v[90:91], v[18:19]
	v_mul_f64 v[50:51], v[90:91], v[16:17]
	s_waitcnt lgkmcnt(1)
	v_mul_f64 v[56:57], v[106:107], v[26:27]
	s_waitcnt lgkmcnt(0)
	v_mul_f64 v[58:59], v[102:103], v[30:31]
	v_mul_f64 v[60:61], v[106:107], v[24:25]
	;; [unrolled: 1-line block ×3, first 2 shown]
	v_fma_f64 v[32:33], v[92:93], v[0:1], v[32:33]
	v_fma_f64 v[34:35], v[92:93], v[2:3], -v[34:35]
	v_fma_f64 v[42:43], v[96:97], v[10:11], -v[42:43]
	v_fma_f64 v[40:41], v[96:97], v[8:9], v[40:41]
	v_fma_f64 v[16:17], v[88:89], v[16:17], v[48:49]
	v_fma_f64 v[18:19], v[88:89], v[18:19], -v[50:51]
	v_fma_f64 v[24:25], v[104:105], v[24:25], v[56:57]
	v_fma_f64 v[28:29], v[100:101], v[28:29], v[58:59]
	v_fma_f64 v[26:27], v[104:105], v[26:27], -v[60:61]
	v_fma_f64 v[30:31], v[100:101], v[30:31], -v[62:63]
	s_waitcnt vmcnt(0)
	v_mul_f64 v[36:37], v[66:67], v[6:7]
	v_mul_f64 v[38:39], v[66:67], v[4:5]
	s_clause 0x3
	buffer_load_dword v66, off, s[60:63], 0 offset:252
	buffer_load_dword v67, off, s[60:63], 0 offset:256
	;; [unrolled: 1-line block ×4, first 2 shown]
	v_fma_f64 v[36:37], v[64:65], v[4:5], v[36:37]
	v_fma_f64 v[38:39], v[64:65], v[6:7], -v[38:39]
	v_add_f64 v[64:65], v[24:25], v[28:29]
	v_add_f64 v[48:49], v[32:33], v[36:37]
	v_add_f64 v[62:63], v[34:35], -v[38:39]
	v_add_f64 v[50:51], v[34:35], v[38:39]
	s_waitcnt vmcnt(0)
	v_mul_f64 v[44:45], v[68:69], v[14:15]
	v_mul_f64 v[46:47], v[68:69], v[12:13]
	s_clause 0x3
	buffer_load_dword v68, off, s[60:63], 0 offset:268
	buffer_load_dword v69, off, s[60:63], 0 offset:272
	;; [unrolled: 1-line block ×4, first 2 shown]
	ds_read_b128 v[0:3], v240
	v_fma_f64 v[44:45], v[66:67], v[12:13], v[44:45]
	v_fma_f64 v[46:47], v[66:67], v[14:15], -v[46:47]
	ds_read_b128 v[4:7], v240 offset:2720
	ds_read_b128 v[8:11], v240 offset:5440
	;; [unrolled: 1-line block ×3, first 2 shown]
	s_waitcnt lgkmcnt(3)
	v_fma_f64 v[48:49], v[48:49], -0.5, v[0:1]
	s_waitcnt vmcnt(0) lgkmcnt(0)
	s_barrier
	buffer_gl0_inv
	v_add_f64 v[58:59], v[0:1], v[32:33]
	v_add_f64 v[34:35], v[2:3], v[34:35]
	v_add_f64 v[32:33], v[32:33], -v[36:37]
	v_fma_f64 v[50:51], v[50:51], -0.5, v[2:3]
	v_add_f64 v[66:67], v[26:27], v[30:31]
	v_add_f64 v[72:73], v[8:9], v[16:17]
	;; [unrolled: 1-line block ×5, first 2 shown]
	v_fma_f64 v[64:65], v[64:65], -0.5, v[12:13]
	v_add_f64 v[0:1], v[58:59], v[36:37]
	v_add_f64 v[2:3], v[34:35], v[38:39]
	v_fma_f64 v[58:59], v[66:67], -0.5, v[14:15]
	v_mul_f64 v[54:55], v[70:71], v[20:21]
	v_mul_f64 v[52:53], v[70:71], v[22:23]
	v_add_f64 v[70:71], v[6:7], v[42:43]
	v_fma_f64 v[22:23], v[68:69], v[22:23], -v[54:55]
	v_fma_f64 v[20:21], v[68:69], v[20:21], v[52:53]
	v_add_f64 v[54:55], v[42:43], v[46:47]
	v_add_f64 v[52:53], v[40:41], v[44:45]
	v_add_f64 v[68:69], v[4:5], v[40:41]
	v_add_f64 v[42:43], v[42:43], -v[46:47]
	v_add_f64 v[40:41], v[40:41], -v[44:45]
	v_add_f64 v[14:15], v[70:71], v[46:47]
	v_add_f64 v[60:61], v[18:19], v[22:23]
	;; [unrolled: 1-line block ×3, first 2 shown]
	v_fma_f64 v[6:7], v[54:55], -0.5, v[6:7]
	v_add_f64 v[54:55], v[16:17], -v[20:21]
	v_add_f64 v[16:17], v[72:73], v[20:21]
	v_add_f64 v[20:21], v[76:77], v[28:29]
	v_fma_f64 v[4:5], v[52:53], -0.5, v[4:5]
	v_add_f64 v[52:53], v[18:19], -v[22:23]
	v_add_f64 v[18:19], v[74:75], v[22:23]
	v_add_f64 v[22:23], v[78:79], v[30:31]
	;; [unrolled: 1-line block ×3, first 2 shown]
	v_fma_f64 v[10:11], v[60:61], -0.5, v[10:11]
	v_add_f64 v[60:61], v[24:25], -v[28:29]
	v_fma_f64 v[24:25], v[62:63], s[2:3], v[48:49]
	v_fma_f64 v[28:29], v[62:63], s[8:9], v[48:49]
	buffer_load_dword v48, off, s[60:63], 0 offset:308 ; 4-byte Folded Reload
	v_fma_f64 v[8:9], v[56:57], -0.5, v[8:9]
	v_add_f64 v[56:57], v[26:27], -v[30:31]
	v_fma_f64 v[26:27], v[32:33], s[8:9], v[50:51]
	v_fma_f64 v[30:31], v[32:33], s[2:3], v[50:51]
	;; [unrolled: 1-line block ×6, first 2 shown]
	s_waitcnt vmcnt(0)
	ds_write_b128 v48, v[0:3]
	ds_write_b128 v48, v[24:27] offset:1088
	ds_write_b128 v48, v[28:31] offset:2176
	buffer_load_dword v0, off, s[60:63], 0 offset:300 ; 4-byte Folded Reload
	v_fma_f64 v[40:41], v[52:53], s[2:3], v[8:9]
	v_fma_f64 v[42:43], v[54:55], s[8:9], v[10:11]
	;; [unrolled: 1-line block ×8, first 2 shown]
	s_waitcnt vmcnt(0)
	ds_write_b128 v0, v[12:15]
	ds_write_b128 v0, v[32:35] offset:1088
	ds_write_b128 v0, v[36:39] offset:2176
	buffer_load_dword v0, off, s[60:63], 0 offset:292 ; 4-byte Folded Reload
	s_waitcnt vmcnt(0)
	ds_write_b128 v0, v[16:19]
	ds_write_b128 v0, v[40:43] offset:1088
	ds_write_b128 v0, v[44:47] offset:2176
	buffer_load_dword v0, off, s[60:63], 0 offset:284 ; 4-byte Folded Reload
	s_waitcnt vmcnt(0)
	ds_write_b128 v0, v[20:23]
	ds_write_b128 v0, v[4:7] offset:1088
	ds_write_b128 v0, v[8:11] offset:2176
	s_waitcnt lgkmcnt(0)
	s_barrier
	buffer_gl0_inv
	ds_read_b128 v[12:15], v240
	ds_read_b128 v[16:19], v240 offset:3264
	ds_read_b128 v[80:83], v240 offset:6528
	;; [unrolled: 1-line block ×9, first 2 shown]
	s_and_saveexec_b32 s1, s0
	s_cbranch_execz .LBB0_19
; %bb.18:
	ds_read_b128 v[4:7], v240 offset:2720
	ds_read_b128 v[8:11], v240 offset:5984
	;; [unrolled: 1-line block ×7, first 2 shown]
	s_waitcnt lgkmcnt(0)
	buffer_store_dword v0, off, s[60:63], 0 offset:60 ; 4-byte Folded Spill
	buffer_store_dword v1, off, s[60:63], 0 offset:64 ; 4-byte Folded Spill
	buffer_store_dword v2, off, s[60:63], 0 offset:68 ; 4-byte Folded Spill
	buffer_store_dword v3, off, s[60:63], 0 offset:72 ; 4-byte Folded Spill
	ds_read_b128 v[0:3], v240 offset:25568
	s_waitcnt lgkmcnt(0)
	buffer_store_dword v0, off, s[60:63], 0 offset:28 ; 4-byte Folded Spill
	buffer_store_dword v1, off, s[60:63], 0 offset:32 ; 4-byte Folded Spill
	buffer_store_dword v2, off, s[60:63], 0 offset:36 ; 4-byte Folded Spill
	buffer_store_dword v3, off, s[60:63], 0 offset:40 ; 4-byte Folded Spill
	ds_read_b128 v[0:3], v240 offset:28832
	;; [unrolled: 6-line block ×3, first 2 shown]
	s_waitcnt lgkmcnt(0)
	buffer_store_dword v0, off, s[60:63], 0 offset:44 ; 4-byte Folded Spill
	buffer_store_dword v1, off, s[60:63], 0 offset:48 ; 4-byte Folded Spill
	;; [unrolled: 1-line block ×4, first 2 shown]
.LBB0_19:
	s_or_b32 exec_lo, exec_lo, s1
	s_clause 0x7
	buffer_load_dword v88, off, s[60:63], 0 offset:356
	buffer_load_dword v89, off, s[60:63], 0 offset:360
	;; [unrolled: 1-line block ×8, first 2 shown]
	s_waitcnt lgkmcnt(4)
	v_mul_f64 v[2:3], v[122:123], v[20:21]
	s_waitcnt lgkmcnt(2)
	v_mul_f64 v[40:41], v[130:131], v[24:25]
	;; [unrolled: 2-line block ×3, first 2 shown]
	v_mul_f64 v[64:65], v[122:123], v[22:23]
	v_mul_f64 v[68:69], v[130:131], v[26:27]
	;; [unrolled: 1-line block ×9, first 2 shown]
	s_mov_b32 s8, 0x134454ff
	s_mov_b32 s9, 0xbfee6f0e
	;; [unrolled: 1-line block ×10, first 2 shown]
	v_fma_f64 v[2:3], v[120:121], v[22:23], -v[2:3]
	v_fma_f64 v[22:23], v[128:129], v[26:27], -v[40:41]
	;; [unrolled: 1-line block ×3, first 2 shown]
	v_fma_f64 v[20:21], v[120:121], v[20:21], v[64:65]
	v_fma_f64 v[24:25], v[128:129], v[24:25], v[68:69]
	v_fma_f64 v[28:29], v[136:137], v[28:29], v[70:71]
	v_fma_f64 v[30:31], v[108:109], v[80:81], v[48:49]
	v_fma_f64 v[40:41], v[108:109], v[82:83], -v[50:51]
	v_fma_f64 v[32:33], v[124:125], v[32:33], v[58:59]
	v_fma_f64 v[38:39], v[132:133], v[38:39], -v[60:61]
	v_fma_f64 v[34:35], v[124:125], v[34:35], -v[62:63]
	v_fma_f64 v[36:37], v[132:133], v[36:37], v[66:67]
	s_mov_b32 s20, 0x9b97f4a8
	s_mov_b32 s21, 0x3fe9e377
	;; [unrolled: 1-line block ×6, first 2 shown]
	v_add_f64 v[100:101], v[2:3], -v[22:23]
	v_add_f64 v[94:95], v[26:27], -v[22:23]
	;; [unrolled: 1-line block ×3, first 2 shown]
	v_add_f64 v[64:65], v[20:21], v[24:25]
	v_add_f64 v[70:71], v[20:21], -v[24:25]
	v_add_f64 v[110:111], v[28:29], -v[24:25]
	;; [unrolled: 1-line block ×5, first 2 shown]
	s_waitcnt vmcnt(4)
	v_mul_f64 v[0:1], v[90:91], v[84:85]
	v_mul_f64 v[52:53], v[90:91], v[86:87]
	s_clause 0x3
	buffer_load_dword v90, off, s[60:63], 0 offset:340
	buffer_load_dword v91, off, s[60:63], 0 offset:344
	;; [unrolled: 1-line block ×4, first 2 shown]
	s_waitcnt vmcnt(4)
	v_mul_f64 v[46:47], v[74:75], v[16:17]
	v_mul_f64 v[44:45], v[74:75], v[18:19]
	v_fma_f64 v[0:1], v[88:89], v[86:87], -v[0:1]
	v_fma_f64 v[42:43], v[88:89], v[84:85], v[52:53]
	v_add_f64 v[88:89], v[40:41], v[38:39]
	v_fma_f64 v[18:19], v[72:73], v[18:19], -v[46:47]
	v_add_f64 v[46:47], v[2:3], v[22:23]
	v_fma_f64 v[16:17], v[72:73], v[16:17], v[44:45]
	v_add_f64 v[44:45], v[12:13], v[30:31]
	v_add_f64 v[72:73], v[30:31], v[36:37]
	v_add_f64 v[86:87], v[38:39], -v[34:35]
	v_add_f64 v[52:53], v[0:1], v[26:27]
	v_add_f64 v[66:67], v[42:43], v[28:29]
	v_add_f64 v[68:69], v[42:43], -v[28:29]
	v_add_f64 v[96:97], v[2:3], -v[0:1]
	v_fma_f64 v[46:47], v[46:47], -0.5, v[18:19]
	v_fma_f64 v[64:65], v[64:65], -0.5, v[16:17]
	v_add_f64 v[108:109], v[42:43], -v[20:21]
	v_fma_f64 v[52:53], v[52:53], -0.5, v[18:19]
	v_fma_f64 v[66:67], v[66:67], -0.5, v[16:17]
	v_add_f64 v[16:17], v[16:17], v[42:43]
	v_add_f64 v[42:43], v[20:21], -v[42:43]
	v_fma_f64 v[104:105], v[68:69], s[16:17], v[46:47]
	v_fma_f64 v[46:47], v[68:69], s[8:9], v[46:47]
	;; [unrolled: 1-line block ×4, first 2 shown]
	v_add_f64 v[16:17], v[16:17], v[20:21]
	v_add_f64 v[20:21], v[108:109], v[110:111]
	;; [unrolled: 1-line block ×3, first 2 shown]
	v_fma_f64 v[46:47], v[70:71], s[10:11], v[46:47]
	v_fma_f64 v[52:53], v[68:69], s[10:11], v[52:53]
	v_add_f64 v[16:17], v[16:17], v[24:25]
	v_add_f64 v[16:17], v[16:17], v[28:29]
	s_waitcnt vmcnt(0)
	v_mul_f64 v[54:55], v[92:93], v[78:79]
	v_mul_f64 v[56:57], v[92:93], v[76:77]
	v_add_f64 v[92:93], v[0:1], -v[2:3]
	v_fma_f64 v[48:49], v[90:91], v[76:77], v[54:55]
	v_fma_f64 v[50:51], v[90:91], v[78:79], -v[56:57]
	v_add_f64 v[90:91], v[0:1], -v[26:27]
	v_add_f64 v[78:79], v[14:15], v[40:41]
	v_add_f64 v[0:1], v[18:19], v[0:1]
	v_add_f64 v[56:57], v[40:41], -v[38:39]
	v_add_f64 v[76:77], v[32:33], -v[36:37]
	v_add_f64 v[54:55], v[48:49], v[32:33]
	v_add_f64 v[60:61], v[30:31], -v[48:49]
	v_add_f64 v[80:81], v[50:51], v[34:35]
	v_add_f64 v[58:59], v[50:51], -v[34:35]
	v_add_f64 v[74:75], v[48:49], -v[30:31]
	;; [unrolled: 1-line block ×4, first 2 shown]
	v_add_f64 v[44:45], v[44:45], v[48:49]
	v_add_f64 v[84:85], v[40:41], -v[50:51]
	v_add_f64 v[40:41], v[50:51], -v[40:41]
	v_add_f64 v[50:51], v[78:79], v[50:51]
	v_add_f64 v[0:1], v[0:1], v[2:3]
	v_fma_f64 v[18:19], v[54:55], -0.5, v[12:13]
	v_fma_f64 v[12:13], v[72:73], -0.5, v[12:13]
	v_add_f64 v[48:49], v[60:61], v[62:63]
	v_fma_f64 v[54:55], v[80:81], -0.5, v[14:15]
	v_fma_f64 v[14:15], v[88:89], -0.5, v[14:15]
	v_add_f64 v[60:61], v[92:93], v[94:95]
	v_add_f64 v[62:63], v[96:97], v[98:99]
	v_fma_f64 v[72:73], v[90:91], s[8:9], v[64:65]
	v_fma_f64 v[80:81], v[100:101], s[16:17], v[66:67]
	;; [unrolled: 1-line block ×6, first 2 shown]
	v_add_f64 v[68:69], v[74:75], v[76:77]
	v_add_f64 v[32:33], v[44:45], v[32:33]
	;; [unrolled: 1-line block ×5, first 2 shown]
	v_fma_f64 v[2:3], v[56:57], s[8:9], v[18:19]
	v_fma_f64 v[70:71], v[58:59], s[16:17], v[12:13]
	;; [unrolled: 1-line block ×16, first 2 shown]
	v_add_f64 v[60:61], v[84:85], v[86:87]
	v_add_f64 v[32:33], v[32:33], v[36:37]
	v_add_f64 v[34:35], v[34:35], v[38:39]
	v_add_f64 v[26:27], v[0:1], v[26:27]
	v_fma_f64 v[2:3], v[58:59], s[10:11], v[2:3]
	v_fma_f64 v[22:23], v[56:57], s[10:11], v[70:71]
	;; [unrolled: 1-line block ×10, first 2 shown]
	v_mul_f64 v[56:57], v[80:81], s[10:11]
	v_mul_f64 v[62:63], v[52:53], s[8:9]
	;; [unrolled: 1-line block ×3, first 2 shown]
	v_fma_f64 v[18:19], v[58:59], s[18:19], v[18:19]
	v_mul_f64 v[58:59], v[88:89], s[8:9]
	v_mul_f64 v[70:71], v[88:89], s[2:3]
	;; [unrolled: 1-line block ×3, first 2 shown]
	v_fma_f64 v[20:21], v[20:21], s[2:3], v[64:65]
	v_mul_f64 v[64:65], v[46:47], s[10:11]
	v_mul_f64 v[46:47], v[46:47], s[24:25]
	v_add_f64 v[0:1], v[32:33], v[16:17]
	v_fma_f64 v[36:37], v[48:49], s[2:3], v[2:3]
	v_add_f64 v[2:3], v[34:35], v[26:27]
	v_fma_f64 v[72:73], v[60:61], s[2:3], v[24:25]
	v_fma_f64 v[60:61], v[60:61], s[2:3], v[44:45]
	;; [unrolled: 1-line block ×4, first 2 shown]
	v_add_f64 v[14:15], v[34:35], -v[26:27]
	v_fma_f64 v[40:41], v[30:31], s[20:21], v[56:57]
	v_fma_f64 v[56:57], v[42:43], s[22:23], v[62:63]
	;; [unrolled: 1-line block ×11, first 2 shown]
	v_add_f64 v[12:13], v[32:33], -v[16:17]
	v_add_f64 v[16:17], v[36:37], v[40:41]
	v_add_f64 v[32:33], v[36:37], -v[40:41]
	v_add_f64 v[18:19], v[72:73], v[62:63]
	;; [unrolled: 2-line block ×3, first 2 shown]
	v_add_f64 v[22:23], v[50:51], v[54:55]
	v_add_f64 v[24:25], v[68:69], v[56:57]
	;; [unrolled: 1-line block ×5, first 2 shown]
	v_add_f64 v[36:37], v[48:49], -v[44:45]
	v_add_f64 v[44:45], v[38:39], -v[58:59]
	;; [unrolled: 1-line block ×6, first 2 shown]
	ds_write_b128 v240, v[0:3]
	ds_write_b128 v240, v[12:15] offset:16320
	ds_write_b128 v240, v[16:19] offset:3264
	ds_write_b128 v240, v[20:23] offset:6528
	ds_write_b128 v240, v[24:27] offset:9792
	ds_write_b128 v240, v[28:31] offset:13056
	ds_write_b128 v240, v[32:35] offset:19584
	ds_write_b128 v240, v[36:39] offset:22848
	ds_write_b128 v240, v[40:43] offset:26112
	ds_write_b128 v240, v[44:47] offset:29376
	s_and_saveexec_b32 s1, s0
	s_cbranch_execz .LBB0_21
; %bb.20:
	s_clause 0x2f
	buffer_load_dword v58, off, s[60:63], 0 offset:440
	buffer_load_dword v59, off, s[60:63], 0 offset:444
	;; [unrolled: 1-line block ×48, first 2 shown]
	s_waitcnt vmcnt(44)
	v_mul_f64 v[0:1], v[60:61], v[172:173]
	s_waitcnt vmcnt(40)
	v_mul_f64 v[2:3], v[56:57], v[114:115]
	;; [unrolled: 2-line block ×5, first 2 shown]
	v_mul_f64 v[24:25], v[46:47], v[186:187]
	s_clause 0x3
	buffer_load_dword v46, off, s[60:63], 0 offset:376
	buffer_load_dword v47, off, s[60:63], 0 offset:380
	;; [unrolled: 1-line block ×4, first 2 shown]
	v_mul_f64 v[26:27], v[60:61], v[174:175]
	v_mul_f64 v[28:29], v[56:57], v[116:117]
	;; [unrolled: 1-line block ×4, first 2 shown]
	s_waitcnt vmcnt(20)
	v_mul_f64 v[18:19], v[52:53], v[168:169]
	s_waitcnt vmcnt(14)
	v_mul_f64 v[20:21], v[68:69], v[78:79]
	;; [unrolled: 2-line block ×3, first 2 shown]
	v_mul_f64 v[36:37], v[68:69], v[80:81]
	v_mul_f64 v[38:39], v[52:53], v[170:171]
	s_waitcnt vmcnt(4)
	v_mul_f64 v[40:41], v[64:65], v[92:93]
	v_fma_f64 v[0:1], v[58:59], v[174:175], -v[0:1]
	v_fma_f64 v[2:3], v[54:55], v[116:117], -v[2:3]
	;; [unrolled: 1-line block ×5, first 2 shown]
	v_fma_f64 v[24:25], v[44:45], v[184:185], v[24:25]
	v_fma_f64 v[26:27], v[58:59], v[172:173], v[26:27]
	;; [unrolled: 1-line block ×5, first 2 shown]
	v_fma_f64 v[18:19], v[50:51], v[170:171], -v[18:19]
	v_fma_f64 v[20:21], v[66:67], v[80:81], -v[20:21]
	;; [unrolled: 1-line block ×3, first 2 shown]
	v_fma_f64 v[36:37], v[66:67], v[78:79], v[36:37]
	v_fma_f64 v[38:39], v[50:51], v[168:169], v[38:39]
	;; [unrolled: 1-line block ×3, first 2 shown]
	v_add_f64 v[70:71], v[0:1], -v[2:3]
	v_add_f64 v[68:69], v[2:3], -v[12:13]
	v_add_f64 v[44:45], v[0:1], v[14:15]
	v_add_f64 v[66:67], v[0:1], -v[14:15]
	v_add_f64 v[72:73], v[14:15], -v[12:13]
	;; [unrolled: 1-line block ×4, first 2 shown]
	v_add_f64 v[88:89], v[16:17], v[6:7]
	v_add_f64 v[50:51], v[26:27], v[30:31]
	v_add_f64 v[52:53], v[26:27], -v[30:31]
	v_add_f64 v[54:55], v[28:29], -v[32:33]
	v_add_f64 v[78:79], v[16:17], v[20:21]
	v_add_f64 v[56:57], v[18:19], v[22:23]
	;; [unrolled: 1-line block ×3, first 2 shown]
	v_add_f64 v[58:59], v[24:25], -v[36:37]
	v_add_f64 v[92:93], v[38:39], v[40:41]
	v_add_f64 v[96:97], v[24:25], -v[38:39]
	v_add_f64 v[102:103], v[38:39], -v[24:25]
	v_add_f64 v[24:25], v[24:25], v[4:5]
	v_add_f64 v[60:61], v[38:39], -v[40:41]
	v_add_f64 v[62:63], v[26:27], -v[28:29]
	;; [unrolled: 1-line block ×10, first 2 shown]
	s_waitcnt vmcnt(0)
	v_mul_f64 v[34:35], v[48:49], v[8:9]
	v_mul_f64 v[42:43], v[48:49], v[10:11]
	v_add_f64 v[48:49], v[28:29], v[32:33]
	v_fma_f64 v[10:11], v[46:47], v[10:11], -v[34:35]
	v_add_f64 v[34:35], v[2:3], v[12:13]
	v_fma_f64 v[8:9], v[46:47], v[8:9], v[42:43]
	v_add_f64 v[42:43], v[16:17], -v[18:19]
	v_add_f64 v[46:47], v[20:21], -v[22:23]
	;; [unrolled: 1-line block ×3, first 2 shown]
	v_add_f64 v[18:19], v[18:19], v[88:89]
	v_fma_f64 v[44:45], v[44:45], -0.5, v[10:11]
	v_fma_f64 v[34:35], v[34:35], -0.5, v[10:11]
	;; [unrolled: 1-line block ×4, first 2 shown]
	v_add_f64 v[0:1], v[10:11], v[0:1]
	v_add_f64 v[8:9], v[8:9], v[26:27]
	v_fma_f64 v[26:27], v[56:57], -0.5, v[6:7]
	v_fma_f64 v[6:7], v[78:79], -0.5, v[6:7]
	v_add_f64 v[56:57], v[70:71], v[72:73]
	v_add_f64 v[70:71], v[84:85], v[86:87]
	;; [unrolled: 1-line block ×6, first 2 shown]
	v_fma_f64 v[90:91], v[54:55], s[16:17], v[44:45]
	v_fma_f64 v[10:11], v[52:53], s[8:9], v[34:35]
	v_fma_f64 v[44:45], v[54:55], s[8:9], v[44:45]
	v_fma_f64 v[34:35], v[52:53], s[16:17], v[34:35]
	v_fma_f64 v[72:73], v[66:67], s[16:17], v[48:49]
	v_fma_f64 v[78:79], v[68:69], s[8:9], v[50:51]
	v_fma_f64 v[50:51], v[68:69], s[16:17], v[50:51]
	v_fma_f64 v[48:49], v[66:67], s[8:9], v[48:49]
	v_add_f64 v[0:1], v[0:1], v[2:3]
	v_add_f64 v[2:3], v[38:39], v[24:25]
	;; [unrolled: 1-line block ×3, first 2 shown]
	v_fma_f64 v[24:25], v[58:59], s[8:9], v[26:27]
	v_fma_f64 v[28:29], v[60:61], s[16:17], v[6:7]
	;; [unrolled: 1-line block ×4, first 2 shown]
	v_add_f64 v[18:19], v[20:21], v[18:19]
	v_fma_f64 v[84:85], v[52:53], s[10:11], v[90:91]
	v_fma_f64 v[10:11], v[54:55], s[10:11], v[10:11]
	;; [unrolled: 1-line block ×4, first 2 shown]
	v_fma_f64 v[52:53], v[92:93], -0.5, v[4:5]
	v_fma_f64 v[4:5], v[94:95], -0.5, v[4:5]
	v_fma_f64 v[38:39], v[68:69], s[18:19], v[72:73]
	v_fma_f64 v[64:65], v[66:67], s[18:19], v[78:79]
	;; [unrolled: 1-line block ×4, first 2 shown]
	v_add_f64 v[0:1], v[0:1], v[12:13]
	v_add_f64 v[2:3], v[40:41], v[2:3]
	;; [unrolled: 1-line block ×5, first 2 shown]
	v_fma_f64 v[12:13], v[60:61], s[10:11], v[24:25]
	v_fma_f64 v[22:23], v[58:59], s[10:11], v[28:29]
	v_fma_f64 v[6:7], v[58:59], s[18:19], v[6:7]
	v_fma_f64 v[24:25], v[60:61], s[18:19], v[26:27]
	v_fma_f64 v[66:67], v[70:71], s[2:3], v[84:85]
	v_fma_f64 v[10:11], v[56:57], s[2:3], v[10:11]
	v_fma_f64 v[44:45], v[70:71], s[2:3], v[44:45]
	v_fma_f64 v[34:35], v[56:57], s[2:3], v[34:35]
	v_fma_f64 v[56:57], v[16:17], s[16:17], v[52:53]
	v_fma_f64 v[68:69], v[100:101], s[8:9], v[4:5]
	v_fma_f64 v[4:5], v[100:101], s[16:17], v[4:5]
	v_fma_f64 v[52:53], v[16:17], s[8:9], v[52:53]
	v_add_f64 v[70:71], v[96:97], v[98:99]
	v_fma_f64 v[26:27], v[46:47], s[2:3], v[38:39]
	v_fma_f64 v[28:29], v[62:63], s[2:3], v[64:65]
	;; [unrolled: 1-line block ×4, first 2 shown]
	v_add_f64 v[14:15], v[0:1], v[14:15]
	v_add_f64 v[20:21], v[36:37], v[2:3]
	;; [unrolled: 1-line block ×3, first 2 shown]
	v_fma_f64 v[12:13], v[42:43], s[2:3], v[12:13]
	v_fma_f64 v[30:31], v[54:55], s[2:3], v[22:23]
	;; [unrolled: 1-line block ×4, first 2 shown]
	v_mul_f64 v[46:47], v[66:67], s[22:23]
	v_mul_f64 v[40:41], v[10:11], s[24:25]
	;; [unrolled: 1-line block ×5, first 2 shown]
	v_fma_f64 v[58:59], v[16:17], s[18:19], v[68:69]
	v_fma_f64 v[4:5], v[16:17], s[10:11], v[4:5]
	;; [unrolled: 1-line block ×4, first 2 shown]
	v_mul_f64 v[44:45], v[44:45], s[8:9]
	v_mul_f64 v[52:53], v[66:67], s[8:9]
	;; [unrolled: 1-line block ×3, first 2 shown]
	v_add_f64 v[6:7], v[14:15], v[18:19]
	v_add_f64 v[2:3], v[18:19], -v[14:15]
	v_add_f64 v[0:1], v[20:21], -v[8:9]
	v_fma_f64 v[42:43], v[28:29], s[16:17], v[46:47]
	v_fma_f64 v[40:41], v[26:27], s[18:19], v[40:41]
	;; [unrolled: 1-line block ×12, first 2 shown]
	v_add_f64 v[4:5], v[8:9], v[20:21]
	v_add_f64 v[14:15], v[30:31], -v[42:43]
	v_add_f64 v[30:31], v[30:31], v[42:43]
	v_add_f64 v[18:19], v[36:37], -v[46:47]
	v_add_f64 v[34:35], v[36:37], v[46:47]
	v_add_f64 v[38:39], v[24:25], v[48:49]
	v_add_f64 v[22:23], v[24:25], -v[48:49]
	v_add_f64 v[26:27], v[12:13], v[40:41]
	v_add_f64 v[36:37], v[16:17], v[58:59]
	v_add_f64 v[20:21], v[16:17], -v[58:59]
	v_add_f64 v[10:11], v[12:13], -v[40:41]
	v_add_f64 v[32:33], v[56:57], v[44:45]
	v_add_f64 v[28:29], v[54:55], v[52:53]
	;; [unrolled: 1-line block ×3, first 2 shown]
	v_add_f64 v[16:17], v[56:57], -v[44:45]
	v_add_f64 v[12:13], v[54:55], -v[52:53]
	;; [unrolled: 1-line block ×3, first 2 shown]
	ds_write_b128 v240, v[4:7] offset:2720
	ds_write_b128 v240, v[0:3] offset:19040
	;; [unrolled: 1-line block ×10, first 2 shown]
.LBB0_21:
	s_or_b32 exec_lo, exec_lo, s1
	s_waitcnt lgkmcnt(0)
	s_waitcnt_vscnt null, 0x0
	s_barrier
	buffer_gl0_inv
	s_and_b32 exec_lo, exec_lo, vcc_lo
	s_cbranch_execz .LBB0_23
; %bb.22:
	global_load_dwordx4 v[0:3], v255, s[12:13]
	ds_read_b128 v[4:7], v240
	ds_read_b128 v[8:11], v255 offset:1920
	ds_read_b128 v[12:15], v255 offset:30720
	s_clause 0x2
	buffer_load_dword v18, off, s[60:63], 0 offset:4
	buffer_load_dword v19, off, s[60:63], 0 offset:8
	buffer_load_dword v21, off, s[60:63], 0
	s_mov_b32 s0, 0x10101010
	s_mov_b32 s1, 0x3f401010
	v_add_co_u32 v22, s2, s12, v255
	v_add_co_ci_u32_e64 v23, null, s13, 0, s2
	s_mul_i32 s2, s5, 0x780
	s_mul_hi_u32 s3, s4, 0x780
	s_add_i32 s3, s3, s2
	s_waitcnt vmcnt(3) lgkmcnt(2)
	v_mul_f64 v[16:17], v[6:7], v[2:3]
	v_mul_f64 v[2:3], v[4:5], v[2:3]
	s_waitcnt vmcnt(2)
	v_mov_b32_e32 v20, v18
	s_waitcnt vmcnt(1)
	v_mad_u64_u32 v[18:19], null, s6, v20, 0
	s_mul_i32 s6, s4, 0x780
	v_fma_f64 v[4:5], v[4:5], v[0:1], v[16:17]
	v_fma_f64 v[2:3], v[0:1], v[6:7], -v[2:3]
	s_waitcnt vmcnt(0)
	v_mad_u64_u32 v[6:7], null, s4, v21, 0
	v_mov_b32_e32 v0, v19
	v_mov_b32_e32 v1, v7
	v_mad_u64_u32 v[16:17], null, s7, v20, v[0:1]
	v_mov_b32_e32 v19, v16
	v_mad_u64_u32 v[20:21], null, s5, v21, v[1:2]
	v_mul_f64 v[0:1], v[4:5], s[0:1]
	v_mul_f64 v[2:3], v[2:3], s[0:1]
	v_lshlrev_b64 v[4:5], 4, v[18:19]
	v_mov_b32_e32 v7, v20
	v_add_co_u32 v20, vcc_lo, s14, v4
	v_add_co_ci_u32_e32 v21, vcc_lo, s15, v5, vcc_lo
	v_lshlrev_b64 v[6:7], 4, v[6:7]
	v_add_co_u32 v4, vcc_lo, v20, v6
	v_add_co_ci_u32_e32 v5, vcc_lo, v21, v7, vcc_lo
	v_add_co_u32 v16, vcc_lo, v4, s6
	global_store_dwordx4 v[4:5], v[0:3], off
	global_load_dwordx4 v[0:3], v255, s[12:13] offset:1920
	v_add_co_ci_u32_e32 v17, vcc_lo, s3, v5, vcc_lo
	v_add_co_u32 v4, vcc_lo, 0x800, v22
	v_add_co_ci_u32_e32 v5, vcc_lo, 0, v23, vcc_lo
	s_waitcnt vmcnt(0) lgkmcnt(1)
	v_mul_f64 v[6:7], v[10:11], v[2:3]
	v_mul_f64 v[2:3], v[8:9], v[2:3]
	v_fma_f64 v[6:7], v[8:9], v[0:1], v[6:7]
	v_fma_f64 v[2:3], v[0:1], v[10:11], -v[2:3]
	v_mul_f64 v[0:1], v[6:7], s[0:1]
	v_mul_f64 v[2:3], v[2:3], s[0:1]
	global_store_dwordx4 v[16:17], v[0:3], off
	global_load_dwordx4 v[0:3], v[4:5], off offset:1792
	ds_read_b128 v[4:7], v255 offset:3840
	ds_read_b128 v[8:11], v255 offset:5760
	s_waitcnt vmcnt(0) lgkmcnt(1)
	v_mul_f64 v[18:19], v[6:7], v[2:3]
	v_mul_f64 v[2:3], v[4:5], v[2:3]
	v_fma_f64 v[4:5], v[4:5], v[0:1], v[18:19]
	v_fma_f64 v[2:3], v[0:1], v[6:7], -v[2:3]
	v_mul_f64 v[0:1], v[4:5], s[0:1]
	v_mul_f64 v[2:3], v[2:3], s[0:1]
	v_add_co_u32 v4, vcc_lo, v16, s6
	v_add_co_ci_u32_e32 v5, vcc_lo, s3, v17, vcc_lo
	v_add_co_u32 v6, vcc_lo, 0x1000, v22
	v_add_co_ci_u32_e32 v7, vcc_lo, 0, v23, vcc_lo
	v_add_co_u32 v16, vcc_lo, v4, s6
	v_add_co_ci_u32_e32 v17, vcc_lo, s3, v5, vcc_lo
	global_store_dwordx4 v[4:5], v[0:3], off
	global_load_dwordx4 v[0:3], v[6:7], off offset:1664
	v_add_co_u32 v4, vcc_lo, 0x1800, v22
	v_add_co_ci_u32_e32 v5, vcc_lo, 0, v23, vcc_lo
	s_waitcnt vmcnt(0) lgkmcnt(0)
	v_mul_f64 v[6:7], v[10:11], v[2:3]
	v_mul_f64 v[2:3], v[8:9], v[2:3]
	v_fma_f64 v[6:7], v[8:9], v[0:1], v[6:7]
	v_fma_f64 v[2:3], v[0:1], v[10:11], -v[2:3]
	v_mul_f64 v[0:1], v[6:7], s[0:1]
	v_mul_f64 v[2:3], v[2:3], s[0:1]
	global_store_dwordx4 v[16:17], v[0:3], off
	global_load_dwordx4 v[0:3], v[4:5], off offset:1536
	ds_read_b128 v[4:7], v255 offset:7680
	ds_read_b128 v[8:11], v255 offset:9600
	s_waitcnt vmcnt(0) lgkmcnt(1)
	v_mul_f64 v[18:19], v[6:7], v[2:3]
	v_mul_f64 v[2:3], v[4:5], v[2:3]
	v_fma_f64 v[4:5], v[4:5], v[0:1], v[18:19]
	v_fma_f64 v[2:3], v[0:1], v[6:7], -v[2:3]
	v_mul_f64 v[0:1], v[4:5], s[0:1]
	v_mul_f64 v[2:3], v[2:3], s[0:1]
	v_add_co_u32 v4, vcc_lo, v16, s6
	v_add_co_ci_u32_e32 v5, vcc_lo, s3, v17, vcc_lo
	v_add_co_u32 v6, vcc_lo, 0x2000, v22
	v_add_co_ci_u32_e32 v7, vcc_lo, 0, v23, vcc_lo
	v_add_co_u32 v16, vcc_lo, v4, s6
	v_add_co_ci_u32_e32 v17, vcc_lo, s3, v5, vcc_lo
	global_store_dwordx4 v[4:5], v[0:3], off
	global_load_dwordx4 v[0:3], v[6:7], off offset:1408
	v_add_co_u32 v4, vcc_lo, 0x2800, v22
	v_add_co_ci_u32_e32 v5, vcc_lo, 0, v23, vcc_lo
	s_waitcnt vmcnt(0) lgkmcnt(0)
	v_mul_f64 v[6:7], v[10:11], v[2:3]
	v_mul_f64 v[2:3], v[8:9], v[2:3]
	v_fma_f64 v[6:7], v[8:9], v[0:1], v[6:7]
	v_fma_f64 v[2:3], v[0:1], v[10:11], -v[2:3]
	v_mul_f64 v[0:1], v[6:7], s[0:1]
	v_mul_f64 v[2:3], v[2:3], s[0:1]
	global_store_dwordx4 v[16:17], v[0:3], off
	global_load_dwordx4 v[0:3], v[4:5], off offset:1280
	ds_read_b128 v[4:7], v255 offset:11520
	ds_read_b128 v[8:11], v255 offset:13440
	s_waitcnt vmcnt(0) lgkmcnt(1)
	v_mul_f64 v[18:19], v[6:7], v[2:3]
	v_mul_f64 v[2:3], v[4:5], v[2:3]
	v_fma_f64 v[4:5], v[4:5], v[0:1], v[18:19]
	v_fma_f64 v[2:3], v[0:1], v[6:7], -v[2:3]
	v_mul_f64 v[0:1], v[4:5], s[0:1]
	v_mul_f64 v[2:3], v[2:3], s[0:1]
	v_add_co_u32 v4, vcc_lo, v16, s6
	v_add_co_ci_u32_e32 v5, vcc_lo, s3, v17, vcc_lo
	v_add_co_u32 v6, vcc_lo, 0x3000, v22
	v_add_co_ci_u32_e32 v7, vcc_lo, 0, v23, vcc_lo
	v_add_co_u32 v16, vcc_lo, v4, s6
	v_add_co_ci_u32_e32 v17, vcc_lo, s3, v5, vcc_lo
	global_store_dwordx4 v[4:5], v[0:3], off
	global_load_dwordx4 v[0:3], v[6:7], off offset:1152
	v_add_co_u32 v4, vcc_lo, 0x3800, v22
	v_add_co_ci_u32_e32 v5, vcc_lo, 0, v23, vcc_lo
	s_waitcnt vmcnt(0) lgkmcnt(0)
	v_mul_f64 v[6:7], v[10:11], v[2:3]
	v_mul_f64 v[2:3], v[8:9], v[2:3]
	v_fma_f64 v[6:7], v[8:9], v[0:1], v[6:7]
	v_fma_f64 v[2:3], v[0:1], v[10:11], -v[2:3]
	v_mul_f64 v[0:1], v[6:7], s[0:1]
	v_mul_f64 v[2:3], v[2:3], s[0:1]
	global_store_dwordx4 v[16:17], v[0:3], off
	global_load_dwordx4 v[0:3], v[4:5], off offset:1024
	ds_read_b128 v[4:7], v255 offset:15360
	ds_read_b128 v[8:11], v255 offset:17280
	s_waitcnt vmcnt(0) lgkmcnt(1)
	v_mul_f64 v[18:19], v[6:7], v[2:3]
	v_mul_f64 v[2:3], v[4:5], v[2:3]
	v_fma_f64 v[4:5], v[4:5], v[0:1], v[18:19]
	v_fma_f64 v[2:3], v[0:1], v[6:7], -v[2:3]
	v_mul_f64 v[0:1], v[4:5], s[0:1]
	v_mul_f64 v[2:3], v[2:3], s[0:1]
	v_add_co_u32 v4, vcc_lo, v16, s6
	v_add_co_ci_u32_e32 v5, vcc_lo, s3, v17, vcc_lo
	v_add_co_u32 v6, vcc_lo, 0x4000, v22
	v_add_co_ci_u32_e32 v7, vcc_lo, 0, v23, vcc_lo
	v_add_co_u32 v16, vcc_lo, v4, s6
	v_add_co_ci_u32_e32 v17, vcc_lo, s3, v5, vcc_lo
	global_store_dwordx4 v[4:5], v[0:3], off
	global_load_dwordx4 v[0:3], v[6:7], off offset:896
	v_add_co_u32 v4, vcc_lo, 0x4800, v22
	v_add_co_ci_u32_e32 v5, vcc_lo, 0, v23, vcc_lo
	s_waitcnt vmcnt(0) lgkmcnt(0)
	v_mul_f64 v[6:7], v[10:11], v[2:3]
	v_mul_f64 v[2:3], v[8:9], v[2:3]
	v_fma_f64 v[6:7], v[8:9], v[0:1], v[6:7]
	v_fma_f64 v[2:3], v[0:1], v[10:11], -v[2:3]
	v_mul_f64 v[0:1], v[6:7], s[0:1]
	v_mul_f64 v[2:3], v[2:3], s[0:1]
	global_store_dwordx4 v[16:17], v[0:3], off
	global_load_dwordx4 v[0:3], v[4:5], off offset:768
	ds_read_b128 v[4:7], v255 offset:19200
	ds_read_b128 v[8:11], v255 offset:21120
	s_waitcnt vmcnt(0) lgkmcnt(1)
	v_mul_f64 v[18:19], v[6:7], v[2:3]
	v_mul_f64 v[2:3], v[4:5], v[2:3]
	v_fma_f64 v[4:5], v[4:5], v[0:1], v[18:19]
	v_fma_f64 v[2:3], v[0:1], v[6:7], -v[2:3]
	v_mul_f64 v[0:1], v[4:5], s[0:1]
	v_mul_f64 v[2:3], v[2:3], s[0:1]
	v_add_co_u32 v4, vcc_lo, v16, s6
	v_add_co_ci_u32_e32 v5, vcc_lo, s3, v17, vcc_lo
	v_add_co_u32 v6, vcc_lo, 0x5000, v22
	v_add_co_ci_u32_e32 v7, vcc_lo, 0, v23, vcc_lo
	v_add_co_u32 v16, vcc_lo, v4, s6
	v_add_co_ci_u32_e32 v17, vcc_lo, s3, v5, vcc_lo
	global_store_dwordx4 v[4:5], v[0:3], off
	global_load_dwordx4 v[0:3], v[6:7], off offset:640
	v_add_co_u32 v4, vcc_lo, 0x5800, v22
	v_add_co_ci_u32_e32 v5, vcc_lo, 0, v23, vcc_lo
	s_waitcnt vmcnt(0) lgkmcnt(0)
	v_mul_f64 v[6:7], v[10:11], v[2:3]
	v_mul_f64 v[2:3], v[8:9], v[2:3]
	v_fma_f64 v[6:7], v[8:9], v[0:1], v[6:7]
	v_fma_f64 v[2:3], v[0:1], v[10:11], -v[2:3]
	v_mul_f64 v[0:1], v[6:7], s[0:1]
	v_mul_f64 v[2:3], v[2:3], s[0:1]
	global_store_dwordx4 v[16:17], v[0:3], off
	global_load_dwordx4 v[0:3], v[4:5], off offset:512
	ds_read_b128 v[4:7], v255 offset:23040
	ds_read_b128 v[8:11], v255 offset:24960
	s_waitcnt vmcnt(0) lgkmcnt(1)
	v_mul_f64 v[18:19], v[6:7], v[2:3]
	v_mul_f64 v[2:3], v[4:5], v[2:3]
	v_fma_f64 v[4:5], v[4:5], v[0:1], v[18:19]
	v_fma_f64 v[2:3], v[0:1], v[6:7], -v[2:3]
	v_mul_f64 v[0:1], v[4:5], s[0:1]
	v_mul_f64 v[2:3], v[2:3], s[0:1]
	v_add_co_u32 v4, vcc_lo, v16, s6
	v_add_co_ci_u32_e32 v5, vcc_lo, s3, v17, vcc_lo
	v_add_co_u32 v6, vcc_lo, 0x6000, v22
	v_add_co_ci_u32_e32 v7, vcc_lo, 0, v23, vcc_lo
	v_add_co_u32 v16, vcc_lo, v4, s6
	v_add_co_ci_u32_e32 v17, vcc_lo, s3, v5, vcc_lo
	global_store_dwordx4 v[4:5], v[0:3], off
	global_load_dwordx4 v[0:3], v[6:7], off offset:384
	v_add_co_u32 v4, vcc_lo, 0x6800, v22
	v_add_co_ci_u32_e32 v5, vcc_lo, 0, v23, vcc_lo
	s_waitcnt vmcnt(0) lgkmcnt(0)
	v_mul_f64 v[6:7], v[10:11], v[2:3]
	v_mul_f64 v[2:3], v[8:9], v[2:3]
	v_fma_f64 v[6:7], v[8:9], v[0:1], v[6:7]
	v_fma_f64 v[2:3], v[0:1], v[10:11], -v[2:3]
	v_mul_f64 v[0:1], v[6:7], s[0:1]
	v_mul_f64 v[2:3], v[2:3], s[0:1]
	global_store_dwordx4 v[16:17], v[0:3], off
	global_load_dwordx4 v[0:3], v[4:5], off offset:256
	ds_read_b128 v[4:7], v255 offset:26880
	ds_read_b128 v[8:11], v255 offset:28800
	s_waitcnt vmcnt(0) lgkmcnt(1)
	v_mul_f64 v[18:19], v[6:7], v[2:3]
	v_mul_f64 v[2:3], v[4:5], v[2:3]
	v_fma_f64 v[4:5], v[4:5], v[0:1], v[18:19]
	v_fma_f64 v[2:3], v[0:1], v[6:7], -v[2:3]
	v_mul_f64 v[0:1], v[4:5], s[0:1]
	v_mul_f64 v[2:3], v[2:3], s[0:1]
	v_add_co_u32 v4, vcc_lo, v16, s6
	v_add_co_ci_u32_e32 v5, vcc_lo, s3, v17, vcc_lo
	v_add_co_u32 v6, vcc_lo, 0x7000, v22
	v_add_co_ci_u32_e32 v7, vcc_lo, 0, v23, vcc_lo
	global_store_dwordx4 v[4:5], v[0:3], off
	global_load_dwordx4 v[0:3], v[6:7], off offset:128
	v_add_co_u32 v4, vcc_lo, v4, s6
	v_add_co_ci_u32_e32 v5, vcc_lo, s3, v5, vcc_lo
	s_waitcnt vmcnt(0) lgkmcnt(0)
	v_mul_f64 v[6:7], v[10:11], v[2:3]
	v_mul_f64 v[2:3], v[8:9], v[2:3]
	v_fma_f64 v[6:7], v[8:9], v[0:1], v[6:7]
	buffer_load_dword v8, off, s[60:63], 0 offset:372 ; 4-byte Folded Reload
	v_fma_f64 v[2:3], v[0:1], v[10:11], -v[2:3]
	v_mul_f64 v[0:1], v[6:7], s[0:1]
	v_mul_f64 v[2:3], v[2:3], s[0:1]
	global_store_dwordx4 v[4:5], v[0:3], off
	s_waitcnt vmcnt(0)
	v_lshlrev_b32_e32 v6, 4, v8
	global_load_dwordx4 v[0:3], v6, s[12:13]
	v_mad_u64_u32 v[6:7], null, s4, v8, 0
	s_waitcnt vmcnt(0)
	v_mul_f64 v[4:5], v[14:15], v[2:3]
	v_mul_f64 v[2:3], v[12:13], v[2:3]
	v_fma_f64 v[4:5], v[12:13], v[0:1], v[4:5]
	v_fma_f64 v[2:3], v[0:1], v[14:15], -v[2:3]
	v_mov_b32_e32 v0, v7
	v_mad_u64_u32 v[7:8], null, s5, v8, v[0:1]
	v_mul_f64 v[0:1], v[4:5], s[0:1]
	v_mul_f64 v[2:3], v[2:3], s[0:1]
	v_lshlrev_b64 v[4:5], 4, v[6:7]
	v_add_co_u32 v4, vcc_lo, v20, v4
	v_add_co_ci_u32_e32 v5, vcc_lo, v21, v5, vcc_lo
	global_store_dwordx4 v[4:5], v[0:3], off
.LBB0_23:
	s_endpgm
	.section	.rodata,"a",@progbits
	.p2align	6, 0x0
	.amdhsa_kernel bluestein_single_back_len2040_dim1_dp_op_CI_CI
		.amdhsa_group_segment_fixed_size 32640
		.amdhsa_private_segment_fixed_size 1148
		.amdhsa_kernarg_size 104
		.amdhsa_user_sgpr_count 6
		.amdhsa_user_sgpr_private_segment_buffer 1
		.amdhsa_user_sgpr_dispatch_ptr 0
		.amdhsa_user_sgpr_queue_ptr 0
		.amdhsa_user_sgpr_kernarg_segment_ptr 1
		.amdhsa_user_sgpr_dispatch_id 0
		.amdhsa_user_sgpr_flat_scratch_init 0
		.amdhsa_user_sgpr_private_segment_size 0
		.amdhsa_wavefront_size32 1
		.amdhsa_uses_dynamic_stack 0
		.amdhsa_system_sgpr_private_segment_wavefront_offset 1
		.amdhsa_system_sgpr_workgroup_id_x 1
		.amdhsa_system_sgpr_workgroup_id_y 0
		.amdhsa_system_sgpr_workgroup_id_z 0
		.amdhsa_system_sgpr_workgroup_info 0
		.amdhsa_system_vgpr_workitem_id 0
		.amdhsa_next_free_vgpr 256
		.amdhsa_next_free_sgpr 64
		.amdhsa_reserve_vcc 1
		.amdhsa_reserve_flat_scratch 0
		.amdhsa_float_round_mode_32 0
		.amdhsa_float_round_mode_16_64 0
		.amdhsa_float_denorm_mode_32 3
		.amdhsa_float_denorm_mode_16_64 3
		.amdhsa_dx10_clamp 1
		.amdhsa_ieee_mode 1
		.amdhsa_fp16_overflow 0
		.amdhsa_workgroup_processor_mode 1
		.amdhsa_memory_ordered 1
		.amdhsa_forward_progress 0
		.amdhsa_shared_vgpr_count 0
		.amdhsa_exception_fp_ieee_invalid_op 0
		.amdhsa_exception_fp_denorm_src 0
		.amdhsa_exception_fp_ieee_div_zero 0
		.amdhsa_exception_fp_ieee_overflow 0
		.amdhsa_exception_fp_ieee_underflow 0
		.amdhsa_exception_fp_ieee_inexact 0
		.amdhsa_exception_int_div_zero 0
	.end_amdhsa_kernel
	.text
.Lfunc_end0:
	.size	bluestein_single_back_len2040_dim1_dp_op_CI_CI, .Lfunc_end0-bluestein_single_back_len2040_dim1_dp_op_CI_CI
                                        ; -- End function
	.section	.AMDGPU.csdata,"",@progbits
; Kernel info:
; codeLenInByte = 38104
; NumSgprs: 66
; NumVgprs: 256
; ScratchSize: 1148
; MemoryBound: 0
; FloatMode: 240
; IeeeMode: 1
; LDSByteSize: 32640 bytes/workgroup (compile time only)
; SGPRBlocks: 8
; VGPRBlocks: 31
; NumSGPRsForWavesPerEU: 66
; NumVGPRsForWavesPerEU: 256
; Occupancy: 4
; WaveLimiterHint : 1
; COMPUTE_PGM_RSRC2:SCRATCH_EN: 1
; COMPUTE_PGM_RSRC2:USER_SGPR: 6
; COMPUTE_PGM_RSRC2:TRAP_HANDLER: 0
; COMPUTE_PGM_RSRC2:TGID_X_EN: 1
; COMPUTE_PGM_RSRC2:TGID_Y_EN: 0
; COMPUTE_PGM_RSRC2:TGID_Z_EN: 0
; COMPUTE_PGM_RSRC2:TIDIG_COMP_CNT: 0
	.text
	.p2alignl 6, 3214868480
	.fill 48, 4, 3214868480
	.type	__hip_cuid_fed5b6d2194ae5cb,@object ; @__hip_cuid_fed5b6d2194ae5cb
	.section	.bss,"aw",@nobits
	.globl	__hip_cuid_fed5b6d2194ae5cb
__hip_cuid_fed5b6d2194ae5cb:
	.byte	0                               ; 0x0
	.size	__hip_cuid_fed5b6d2194ae5cb, 1

	.ident	"AMD clang version 19.0.0git (https://github.com/RadeonOpenCompute/llvm-project roc-6.4.0 25133 c7fe45cf4b819c5991fe208aaa96edf142730f1d)"
	.section	".note.GNU-stack","",@progbits
	.addrsig
	.addrsig_sym __hip_cuid_fed5b6d2194ae5cb
	.amdgpu_metadata
---
amdhsa.kernels:
  - .args:
      - .actual_access:  read_only
        .address_space:  global
        .offset:         0
        .size:           8
        .value_kind:     global_buffer
      - .actual_access:  read_only
        .address_space:  global
        .offset:         8
        .size:           8
        .value_kind:     global_buffer
      - .actual_access:  read_only
        .address_space:  global
        .offset:         16
        .size:           8
        .value_kind:     global_buffer
      - .actual_access:  read_only
        .address_space:  global
        .offset:         24
        .size:           8
        .value_kind:     global_buffer
      - .actual_access:  read_only
        .address_space:  global
        .offset:         32
        .size:           8
        .value_kind:     global_buffer
      - .offset:         40
        .size:           8
        .value_kind:     by_value
      - .address_space:  global
        .offset:         48
        .size:           8
        .value_kind:     global_buffer
      - .address_space:  global
        .offset:         56
        .size:           8
        .value_kind:     global_buffer
      - .address_space:  global
        .offset:         64
        .size:           8
        .value_kind:     global_buffer
      - .address_space:  global
        .offset:         72
        .size:           8
        .value_kind:     global_buffer
      - .offset:         80
        .size:           4
        .value_kind:     by_value
      - .address_space:  global
        .offset:         88
        .size:           8
        .value_kind:     global_buffer
      - .address_space:  global
        .offset:         96
        .size:           8
        .value_kind:     global_buffer
    .group_segment_fixed_size: 32640
    .kernarg_segment_align: 8
    .kernarg_segment_size: 104
    .language:       OpenCL C
    .language_version:
      - 2
      - 0
    .max_flat_workgroup_size: 170
    .name:           bluestein_single_back_len2040_dim1_dp_op_CI_CI
    .private_segment_fixed_size: 1148
    .sgpr_count:     66
    .sgpr_spill_count: 0
    .symbol:         bluestein_single_back_len2040_dim1_dp_op_CI_CI.kd
    .uniform_work_group_size: 1
    .uses_dynamic_stack: false
    .vgpr_count:     256
    .vgpr_spill_count: 367
    .wavefront_size: 32
    .workgroup_processor_mode: 1
amdhsa.target:   amdgcn-amd-amdhsa--gfx1030
amdhsa.version:
  - 1
  - 2
...

	.end_amdgpu_metadata
